;; amdgpu-corpus repo=ROCm/rocFFT kind=compiled arch=gfx1201 opt=O3
	.text
	.amdgcn_target "amdgcn-amd-amdhsa--gfx1201"
	.amdhsa_code_object_version 6
	.protected	fft_rtc_fwd_len546_factors_13_3_7_2_wgs_117_tpt_39_halfLds_dp_ip_CI_unitstride_sbrr_R2C_dirReg ; -- Begin function fft_rtc_fwd_len546_factors_13_3_7_2_wgs_117_tpt_39_halfLds_dp_ip_CI_unitstride_sbrr_R2C_dirReg
	.globl	fft_rtc_fwd_len546_factors_13_3_7_2_wgs_117_tpt_39_halfLds_dp_ip_CI_unitstride_sbrr_R2C_dirReg
	.p2align	8
	.type	fft_rtc_fwd_len546_factors_13_3_7_2_wgs_117_tpt_39_halfLds_dp_ip_CI_unitstride_sbrr_R2C_dirReg,@function
fft_rtc_fwd_len546_factors_13_3_7_2_wgs_117_tpt_39_halfLds_dp_ip_CI_unitstride_sbrr_R2C_dirReg: ; @fft_rtc_fwd_len546_factors_13_3_7_2_wgs_117_tpt_39_halfLds_dp_ip_CI_unitstride_sbrr_R2C_dirReg
; %bb.0:
	s_load_b128 s[4:7], s[0:1], 0x0
	v_mul_u32_u24_e32 v1, 0x691, v0
	s_clause 0x1
	s_load_b64 s[8:9], s[0:1], 0x50
	s_load_b64 s[10:11], s[0:1], 0x18
	v_mov_b32_e32 v5, 0
	v_lshrrev_b32_e32 v1, 16, v1
	s_delay_alu instid0(VALU_DEP_1) | instskip(SKIP_3) | instid1(VALU_DEP_1)
	v_mad_co_u64_u32 v[1:2], null, ttmp9, 3, v[1:2]
	v_mov_b32_e32 v3, 0
	v_mov_b32_e32 v4, 0
	;; [unrolled: 1-line block ×4, first 2 shown]
	s_wait_kmcnt 0x0
	v_cmp_lt_u64_e64 s2, s[6:7], 2
	v_mov_b32_e32 v9, v1
	s_delay_alu instid0(VALU_DEP_2)
	s_and_b32 vcc_lo, exec_lo, s2
	s_cbranch_vccnz .LBB0_8
; %bb.1:
	s_load_b64 s[2:3], s[0:1], 0x10
	v_dual_mov_b32 v3, 0 :: v_dual_mov_b32 v8, v2
	v_dual_mov_b32 v4, 0 :: v_dual_mov_b32 v7, v1
	s_add_nc_u64 s[12:13], s[10:11], 8
	s_mov_b64 s[14:15], 1
	s_wait_kmcnt 0x0
	s_add_nc_u64 s[16:17], s[2:3], 8
	s_mov_b32 s3, 0
.LBB0_2:                                ; =>This Inner Loop Header: Depth=1
	s_load_b64 s[18:19], s[16:17], 0x0
                                        ; implicit-def: $vgpr9_vgpr10
	s_mov_b32 s2, exec_lo
	s_wait_kmcnt 0x0
	v_or_b32_e32 v6, s19, v8
	s_delay_alu instid0(VALU_DEP_1)
	v_cmpx_ne_u64_e32 0, v[5:6]
	s_wait_alu 0xfffe
	s_xor_b32 s20, exec_lo, s2
	s_cbranch_execz .LBB0_4
; %bb.3:                                ;   in Loop: Header=BB0_2 Depth=1
	s_cvt_f32_u32 s2, s18
	s_cvt_f32_u32 s21, s19
	s_sub_nc_u64 s[24:25], 0, s[18:19]
	s_wait_alu 0xfffe
	s_delay_alu instid0(SALU_CYCLE_1) | instskip(SKIP_1) | instid1(SALU_CYCLE_2)
	s_fmamk_f32 s2, s21, 0x4f800000, s2
	s_wait_alu 0xfffe
	v_s_rcp_f32 s2, s2
	s_delay_alu instid0(TRANS32_DEP_1) | instskip(SKIP_1) | instid1(SALU_CYCLE_2)
	s_mul_f32 s2, s2, 0x5f7ffffc
	s_wait_alu 0xfffe
	s_mul_f32 s21, s2, 0x2f800000
	s_wait_alu 0xfffe
	s_delay_alu instid0(SALU_CYCLE_2) | instskip(SKIP_1) | instid1(SALU_CYCLE_2)
	s_trunc_f32 s21, s21
	s_wait_alu 0xfffe
	s_fmamk_f32 s2, s21, 0xcf800000, s2
	s_cvt_u32_f32 s23, s21
	s_wait_alu 0xfffe
	s_delay_alu instid0(SALU_CYCLE_1) | instskip(SKIP_1) | instid1(SALU_CYCLE_2)
	s_cvt_u32_f32 s22, s2
	s_wait_alu 0xfffe
	s_mul_u64 s[26:27], s[24:25], s[22:23]
	s_wait_alu 0xfffe
	s_mul_hi_u32 s29, s22, s27
	s_mul_i32 s28, s22, s27
	s_mul_hi_u32 s2, s22, s26
	s_mul_i32 s30, s23, s26
	s_wait_alu 0xfffe
	s_add_nc_u64 s[28:29], s[2:3], s[28:29]
	s_mul_hi_u32 s21, s23, s26
	s_mul_hi_u32 s31, s23, s27
	s_add_co_u32 s2, s28, s30
	s_wait_alu 0xfffe
	s_add_co_ci_u32 s2, s29, s21
	s_mul_i32 s26, s23, s27
	s_add_co_ci_u32 s27, s31, 0
	s_wait_alu 0xfffe
	s_add_nc_u64 s[26:27], s[2:3], s[26:27]
	s_wait_alu 0xfffe
	v_add_co_u32 v2, s2, s22, s26
	s_delay_alu instid0(VALU_DEP_1) | instskip(SKIP_1) | instid1(VALU_DEP_1)
	s_cmp_lg_u32 s2, 0
	s_add_co_ci_u32 s23, s23, s27
	v_readfirstlane_b32 s22, v2
	s_wait_alu 0xfffe
	s_delay_alu instid0(VALU_DEP_1)
	s_mul_u64 s[24:25], s[24:25], s[22:23]
	s_wait_alu 0xfffe
	s_mul_hi_u32 s27, s22, s25
	s_mul_i32 s26, s22, s25
	s_mul_hi_u32 s2, s22, s24
	s_mul_i32 s28, s23, s24
	s_wait_alu 0xfffe
	s_add_nc_u64 s[26:27], s[2:3], s[26:27]
	s_mul_hi_u32 s21, s23, s24
	s_mul_hi_u32 s22, s23, s25
	s_wait_alu 0xfffe
	s_add_co_u32 s2, s26, s28
	s_add_co_ci_u32 s2, s27, s21
	s_mul_i32 s24, s23, s25
	s_add_co_ci_u32 s25, s22, 0
	s_wait_alu 0xfffe
	s_add_nc_u64 s[24:25], s[2:3], s[24:25]
	s_wait_alu 0xfffe
	v_add_co_u32 v2, s2, v2, s24
	s_delay_alu instid0(VALU_DEP_1) | instskip(SKIP_1) | instid1(VALU_DEP_1)
	s_cmp_lg_u32 s2, 0
	s_add_co_ci_u32 s2, s23, s25
	v_mul_hi_u32 v6, v7, v2
	s_wait_alu 0xfffe
	v_mad_co_u64_u32 v[9:10], null, v7, s2, 0
	v_mad_co_u64_u32 v[11:12], null, v8, v2, 0
	;; [unrolled: 1-line block ×3, first 2 shown]
	s_delay_alu instid0(VALU_DEP_3) | instskip(SKIP_1) | instid1(VALU_DEP_4)
	v_add_co_u32 v2, vcc_lo, v6, v9
	s_wait_alu 0xfffd
	v_add_co_ci_u32_e32 v6, vcc_lo, 0, v10, vcc_lo
	s_delay_alu instid0(VALU_DEP_2) | instskip(SKIP_1) | instid1(VALU_DEP_2)
	v_add_co_u32 v2, vcc_lo, v2, v11
	s_wait_alu 0xfffd
	v_add_co_ci_u32_e32 v2, vcc_lo, v6, v12, vcc_lo
	s_wait_alu 0xfffd
	v_add_co_ci_u32_e32 v6, vcc_lo, 0, v14, vcc_lo
	s_delay_alu instid0(VALU_DEP_2) | instskip(SKIP_1) | instid1(VALU_DEP_2)
	v_add_co_u32 v2, vcc_lo, v2, v13
	s_wait_alu 0xfffd
	v_add_co_ci_u32_e32 v6, vcc_lo, 0, v6, vcc_lo
	s_delay_alu instid0(VALU_DEP_2) | instskip(SKIP_1) | instid1(VALU_DEP_3)
	v_mul_lo_u32 v11, s19, v2
	v_mad_co_u64_u32 v[9:10], null, s18, v2, 0
	v_mul_lo_u32 v12, s18, v6
	s_delay_alu instid0(VALU_DEP_2) | instskip(NEXT) | instid1(VALU_DEP_2)
	v_sub_co_u32 v9, vcc_lo, v7, v9
	v_add3_u32 v10, v10, v12, v11
	s_delay_alu instid0(VALU_DEP_1) | instskip(SKIP_1) | instid1(VALU_DEP_1)
	v_sub_nc_u32_e32 v11, v8, v10
	s_wait_alu 0xfffd
	v_subrev_co_ci_u32_e64 v11, s2, s19, v11, vcc_lo
	v_add_co_u32 v12, s2, v2, 2
	s_wait_alu 0xf1ff
	v_add_co_ci_u32_e64 v13, s2, 0, v6, s2
	v_sub_co_u32 v14, s2, v9, s18
	v_sub_co_ci_u32_e32 v10, vcc_lo, v8, v10, vcc_lo
	s_wait_alu 0xf1ff
	v_subrev_co_ci_u32_e64 v11, s2, 0, v11, s2
	s_delay_alu instid0(VALU_DEP_3) | instskip(NEXT) | instid1(VALU_DEP_3)
	v_cmp_le_u32_e32 vcc_lo, s18, v14
	v_cmp_eq_u32_e64 s2, s19, v10
	s_wait_alu 0xfffd
	v_cndmask_b32_e64 v14, 0, -1, vcc_lo
	v_cmp_le_u32_e32 vcc_lo, s19, v11
	s_wait_alu 0xfffd
	v_cndmask_b32_e64 v15, 0, -1, vcc_lo
	v_cmp_le_u32_e32 vcc_lo, s18, v9
	;; [unrolled: 3-line block ×3, first 2 shown]
	s_wait_alu 0xfffd
	v_cndmask_b32_e64 v16, 0, -1, vcc_lo
	v_cmp_eq_u32_e32 vcc_lo, s19, v11
	s_wait_alu 0xf1ff
	s_delay_alu instid0(VALU_DEP_2)
	v_cndmask_b32_e64 v9, v16, v9, s2
	s_wait_alu 0xfffd
	v_cndmask_b32_e32 v11, v15, v14, vcc_lo
	v_add_co_u32 v14, vcc_lo, v2, 1
	s_wait_alu 0xfffd
	v_add_co_ci_u32_e32 v15, vcc_lo, 0, v6, vcc_lo
	s_delay_alu instid0(VALU_DEP_3) | instskip(SKIP_1) | instid1(VALU_DEP_2)
	v_cmp_ne_u32_e32 vcc_lo, 0, v11
	s_wait_alu 0xfffd
	v_dual_cndmask_b32 v10, v15, v13 :: v_dual_cndmask_b32 v11, v14, v12
	v_cmp_ne_u32_e32 vcc_lo, 0, v9
	s_wait_alu 0xfffd
	s_delay_alu instid0(VALU_DEP_2) | instskip(NEXT) | instid1(VALU_DEP_3)
	v_cndmask_b32_e32 v10, v6, v10, vcc_lo
	v_cndmask_b32_e32 v9, v2, v11, vcc_lo
.LBB0_4:                                ;   in Loop: Header=BB0_2 Depth=1
	s_wait_alu 0xfffe
	s_and_not1_saveexec_b32 s2, s20
	s_cbranch_execz .LBB0_6
; %bb.5:                                ;   in Loop: Header=BB0_2 Depth=1
	v_cvt_f32_u32_e32 v2, s18
	s_sub_co_i32 s20, 0, s18
	s_delay_alu instid0(VALU_DEP_1) | instskip(NEXT) | instid1(TRANS32_DEP_1)
	v_rcp_iflag_f32_e32 v2, v2
	v_mul_f32_e32 v2, 0x4f7ffffe, v2
	s_delay_alu instid0(VALU_DEP_1) | instskip(SKIP_1) | instid1(VALU_DEP_1)
	v_cvt_u32_f32_e32 v2, v2
	s_wait_alu 0xfffe
	v_mul_lo_u32 v6, s20, v2
	s_delay_alu instid0(VALU_DEP_1) | instskip(NEXT) | instid1(VALU_DEP_1)
	v_mul_hi_u32 v6, v2, v6
	v_add_nc_u32_e32 v2, v2, v6
	s_delay_alu instid0(VALU_DEP_1) | instskip(NEXT) | instid1(VALU_DEP_1)
	v_mul_hi_u32 v2, v7, v2
	v_mul_lo_u32 v6, v2, s18
	v_add_nc_u32_e32 v9, 1, v2
	s_delay_alu instid0(VALU_DEP_2) | instskip(NEXT) | instid1(VALU_DEP_1)
	v_sub_nc_u32_e32 v6, v7, v6
	v_subrev_nc_u32_e32 v10, s18, v6
	v_cmp_le_u32_e32 vcc_lo, s18, v6
	s_wait_alu 0xfffd
	s_delay_alu instid0(VALU_DEP_2) | instskip(SKIP_2) | instid1(VALU_DEP_3)
	v_cndmask_b32_e32 v6, v6, v10, vcc_lo
	v_mov_b32_e32 v10, v5
	v_cndmask_b32_e32 v2, v2, v9, vcc_lo
	v_cmp_le_u32_e32 vcc_lo, s18, v6
	s_delay_alu instid0(VALU_DEP_2) | instskip(SKIP_1) | instid1(VALU_DEP_1)
	v_add_nc_u32_e32 v9, 1, v2
	s_wait_alu 0xfffd
	v_cndmask_b32_e32 v9, v2, v9, vcc_lo
.LBB0_6:                                ;   in Loop: Header=BB0_2 Depth=1
	s_wait_alu 0xfffe
	s_or_b32 exec_lo, exec_lo, s2
	s_load_b64 s[20:21], s[12:13], 0x0
	v_mul_lo_u32 v2, v10, s18
	v_mul_lo_u32 v6, v9, s19
	v_mad_co_u64_u32 v[11:12], null, v9, s18, 0
	s_add_nc_u64 s[14:15], s[14:15], 1
	s_add_nc_u64 s[12:13], s[12:13], 8
	s_wait_alu 0xfffe
	v_cmp_ge_u64_e64 s2, s[14:15], s[6:7]
	s_add_nc_u64 s[16:17], s[16:17], 8
	s_delay_alu instid0(VALU_DEP_2) | instskip(NEXT) | instid1(VALU_DEP_3)
	v_add3_u32 v2, v12, v6, v2
	v_sub_co_u32 v6, vcc_lo, v7, v11
	s_wait_alu 0xfffd
	s_delay_alu instid0(VALU_DEP_2) | instskip(SKIP_3) | instid1(VALU_DEP_2)
	v_sub_co_ci_u32_e32 v2, vcc_lo, v8, v2, vcc_lo
	s_and_b32 vcc_lo, exec_lo, s2
	s_wait_kmcnt 0x0
	v_mul_lo_u32 v7, s21, v6
	v_mul_lo_u32 v2, s20, v2
	v_mad_co_u64_u32 v[3:4], null, s20, v6, v[3:4]
	s_delay_alu instid0(VALU_DEP_1)
	v_add3_u32 v4, v7, v4, v2
	s_wait_alu 0xfffe
	s_cbranch_vccnz .LBB0_8
; %bb.7:                                ;   in Loop: Header=BB0_2 Depth=1
	v_dual_mov_b32 v7, v9 :: v_dual_mov_b32 v8, v10
	s_branch .LBB0_2
.LBB0_8:
	s_lshl_b64 s[2:3], s[6:7], 3
	v_mul_hi_u32 v2, 0xaaaaaaab, v1
	s_wait_alu 0xfffe
	s_add_nc_u64 s[2:3], s[10:11], s[2:3]
	v_mul_hi_u32 v5, 0x6906907, v0
	s_load_b64 s[2:3], s[2:3], 0x0
	s_load_b64 s[0:1], s[0:1], 0x20
	s_delay_alu instid0(VALU_DEP_2) | instskip(NEXT) | instid1(VALU_DEP_2)
	v_lshrrev_b32_e32 v6, 1, v2
	v_mul_u32_u24_e32 v5, 39, v5
	s_delay_alu instid0(VALU_DEP_1) | instskip(NEXT) | instid1(VALU_DEP_1)
	v_sub_nc_u32_e32 v60, v0, v5
	v_add_nc_u32_e32 v64, 39, v60
	s_wait_kmcnt 0x0
	v_mul_lo_u32 v7, s2, v10
	v_mul_lo_u32 v8, s3, v9
	v_mad_co_u64_u32 v[2:3], null, s2, v9, v[3:4]
	v_lshl_add_u32 v4, v6, 1, v6
	v_cmp_gt_u64_e32 vcc_lo, s[0:1], v[9:10]
	v_cmp_le_u64_e64 s0, s[0:1], v[9:10]
	s_delay_alu instid0(VALU_DEP_3) | instskip(SKIP_1) | instid1(VALU_DEP_3)
	v_sub_nc_u32_e32 v0, v1, v4
	v_add3_u32 v3, v8, v3, v7
	s_and_saveexec_b32 s1, s0
	s_wait_alu 0xfffe
	s_xor_b32 s0, exec_lo, s1
; %bb.9:
	v_add_nc_u32_e32 v64, 39, v60
; %bb.10:
	s_wait_alu 0xfffe
	s_or_saveexec_b32 s1, s0
	v_mul_u32_u24_e32 v119, 0x223, v0
	v_lshlrev_b64_e32 v[254:255], 4, v[2:3]
	v_lshlrev_b32_e32 v122, 4, v60
	s_delay_alu instid0(VALU_DEP_3)
	v_lshlrev_b32_e32 v123, 4, v119
	s_wait_alu 0xfffe
	s_xor_b32 exec_lo, exec_lo, s1
	s_cbranch_execz .LBB0_12
; %bb.11:
	v_mov_b32_e32 v61, 0
	v_add_co_u32 v2, s0, s8, v254
	s_wait_alu 0xf1ff
	v_add_co_ci_u32_e64 v3, s0, s9, v255, s0
	s_delay_alu instid0(VALU_DEP_3) | instskip(SKIP_1) | instid1(VALU_DEP_2)
	v_lshlrev_b64_e32 v[0:1], 4, v[60:61]
	v_add3_u32 v56, 0, v123, v122
	v_add_co_u32 v52, s0, v2, v0
	s_wait_alu 0xf1ff
	s_delay_alu instid0(VALU_DEP_3)
	v_add_co_ci_u32_e64 v53, s0, v3, v1, s0
	s_clause 0xd
	global_load_b128 v[0:3], v[52:53], off
	global_load_b128 v[4:7], v[52:53], off offset:624
	global_load_b128 v[8:11], v[52:53], off offset:1248
	;; [unrolled: 1-line block ×13, first 2 shown]
	s_wait_loadcnt 0xd
	ds_store_b128 v56, v[0:3]
	s_wait_loadcnt 0xc
	ds_store_b128 v56, v[4:7] offset:624
	s_wait_loadcnt 0xb
	ds_store_b128 v56, v[8:11] offset:1248
	;; [unrolled: 2-line block ×13, first 2 shown]
.LBB0_12:
	s_or_b32 exec_lo, exec_lo, s1
	v_add_nc_u32_e32 v120, 0, v122
	v_add_nc_u32_e32 v118, 0, v123
	global_wb scope:SCOPE_SE
	s_wait_dscnt 0x0
	s_barrier_signal -1
	s_barrier_wait -1
	v_add_nc_u32_e32 v121, v120, v123
	v_add_nc_u32_e32 v117, v118, v122
	global_inv scope:SCOPE_SE
	s_mov_b32 s2, 0x4267c47c
	s_mov_b32 s12, 0x42a4c3d2
	ds_load_b128 v[8:11], v121 offset:672
	ds_load_b128 v[4:7], v117
	ds_load_b128 v[0:3], v121 offset:624
	ds_load_b128 v[12:15], v121 offset:1296
	;; [unrolled: 1-line block ×14, first 2 shown]
	s_mov_b32 s20, 0x66966769
	s_mov_b32 s16, 0x2ef20147
	;; [unrolled: 1-line block ×5, first 2 shown]
	s_wait_dscnt 0xe
	v_add_f64_e32 v[20:21], v[4:5], v[8:9]
	v_add_f64_e32 v[22:23], v[6:7], v[10:11]
	s_wait_dscnt 0xc
	v_add_f64_e32 v[24:25], v[0:1], v[12:13]
	v_add_f64_e32 v[26:27], v[2:3], v[14:15]
	s_mov_b32 s13, 0xbfea55e2
	s_mov_b32 s21, 0xbfefc445
	;; [unrolled: 1-line block ×9, first 2 shown]
	s_wait_dscnt 0x1
	v_add_f64_e32 v[103:104], v[54:55], v[73:74]
	s_wait_dscnt 0x0
	v_add_f64_e32 v[87:88], v[50:51], v[93:94]
	v_add_f64_e32 v[85:86], v[52:53], v[95:96]
	v_add_f64_e64 v[79:80], v[50:51], -v[93:94]
	v_add_f64_e64 v[83:84], v[52:53], -v[95:96]
	;; [unrolled: 1-line block ×3, first 2 shown]
	s_mov_b32 s14, 0xd0032e0c
	s_mov_b32 s28, 0x93053d00
	s_mov_b32 s7, 0x3fec55a7
	s_mov_b32 s19, 0x3fe22d96
	s_mov_b32 s25, 0x3fbedb7d
	s_mov_b32 s23, 0xbfd6b1d8
	s_mov_b32 s15, 0xbfe7f3cc
	s_mov_b32 s29, 0xbfef11f4
	s_mov_b32 s31, 0x3fe5384d
	s_mov_b32 s37, 0x3fefc445
	s_mov_b32 s35, 0x3fddbe06
	s_mov_b32 s30, s10
	s_wait_alu 0xfffe
	s_mov_b32 s36, s20
	s_mov_b32 s34, s2
	v_add_f64_e32 v[101:102], v[56:57], v[75:76]
	v_add_f64_e64 v[107:108], v[56:57], -v[75:76]
	s_mov_b32 s39, 0x3fedeba7
	s_mov_b32 s38, s16
	;; [unrolled: 1-line block ×3, first 2 shown]
	v_add_f64_e32 v[20:21], v[20:21], v[16:17]
	v_add_f64_e32 v[22:23], v[22:23], v[18:19]
	;; [unrolled: 1-line block ×4, first 2 shown]
	s_mov_b32 s42, s26
	s_mov_b32 s41, 0x3fea55e2
	;; [unrolled: 1-line block ×3, first 2 shown]
	v_mad_u32_u24 v61, 0xd0, v60, v118
	s_mov_b32 s1, exec_lo
	v_add_f64_e32 v[20:21], v[20:21], v[32:33]
	v_add_f64_e32 v[22:23], v[22:23], v[34:35]
	;; [unrolled: 1-line block ×4, first 2 shown]
	s_delay_alu instid0(VALU_DEP_4) | instskip(NEXT) | instid1(VALU_DEP_4)
	v_add_f64_e32 v[20:21], v[20:21], v[36:37]
	v_add_f64_e32 v[22:23], v[22:23], v[38:39]
	s_delay_alu instid0(VALU_DEP_4) | instskip(NEXT) | instid1(VALU_DEP_4)
	v_add_f64_e32 v[24:25], v[24:25], v[42:43]
	v_add_f64_e32 v[26:27], v[26:27], v[44:45]
	;; [unrolled: 3-line block ×6, first 2 shown]
	ds_load_b128 v[20:23], v121 offset:8064
	ds_load_b128 v[97:100], v121 offset:5328
	;; [unrolled: 1-line block ×10, first 2 shown]
	global_wb scope:SCOPE_SE
	s_wait_dscnt 0x0
	s_barrier_signal -1
	s_barrier_wait -1
	global_inv scope:SCOPE_SE
	v_add_f64_e32 v[154:155], v[32:33], v[132:133]
	v_add_f64_e32 v[156:157], v[34:35], v[134:135]
	v_add_f64_e64 v[146:147], v[10:11], -v[22:23]
	v_add_f64_e64 v[148:149], v[8:9], -v[20:21]
	v_add_f64_e32 v[162:163], v[16:17], v[140:141]
	v_add_f64_e32 v[164:165], v[18:19], v[142:143]
	v_add_f64_e64 v[166:167], v[16:17], -v[140:141]
	v_add_f64_e64 v[168:169], v[18:19], -v[142:143]
	v_add_f64_e32 v[16:17], v[69:70], v[97:98]
	v_add_f64_e64 v[18:19], v[69:70], -v[97:98]
	v_add_f64_e32 v[111:112], v[36:37], v[124:125]
	v_add_f64_e32 v[109:110], v[38:39], v[126:127]
	v_add_f64_e64 v[150:151], v[36:37], -v[124:125]
	v_add_f64_e64 v[152:153], v[38:39], -v[126:127]
	v_add_f64_e32 v[8:9], v[8:9], v[20:21]
	v_add_f64_e32 v[10:11], v[10:11], v[22:23]
	;; [unrolled: 1-line block ×7, first 2 shown]
	v_add_f64_e64 v[38:39], v[71:72], -v[99:100]
	v_add_f64_e32 v[54:55], v[12:13], v[24:25]
	v_add_f64_e64 v[158:159], v[32:33], -v[132:133]
	v_add_f64_e64 v[160:161], v[34:35], -v[134:135]
	v_add_f64_e32 v[32:33], v[65:66], v[113:114]
	v_add_f64_e32 v[56:57], v[67:68], v[115:116]
	v_add_f64_e64 v[34:35], v[65:66], -v[113:114]
	v_add_f64_e64 v[52:53], v[67:68], -v[115:116]
	v_add_f64_e32 v[65:66], v[44:45], v[130:131]
	v_add_f64_e64 v[67:68], v[44:45], -v[130:131]
	v_add_f64_e32 v[44:45], v[46:47], v[136:137]
	v_add_f64_e32 v[71:72], v[48:49], v[138:139]
	v_add_f64_e64 v[50:51], v[46:47], -v[136:137]
	v_add_f64_e64 v[73:74], v[48:49], -v[138:139]
	v_add_f64_e32 v[46:47], v[89:90], v[28:29]
	v_add_f64_e32 v[75:76], v[91:92], v[30:31]
	v_add_f64_e64 v[48:49], v[89:90], -v[28:29]
	v_add_f64_e64 v[77:78], v[91:92], -v[30:31]
	v_add_f64_e32 v[91:92], v[14:15], v[26:27]
	v_mul_f64_e32 v[97:98], s[2:3], v[146:147]
	v_mul_f64_e32 v[99:100], s[2:3], v[148:149]
	;; [unrolled: 1-line block ×9, first 2 shown]
	v_add_f64_e64 v[89:90], v[14:15], -v[26:27]
	v_mul_f64_e32 v[14:15], s[12:13], v[168:169]
	v_mul_f64_e32 v[186:187], s[16:17], v[168:169]
	;; [unrolled: 1-line block ×4, first 2 shown]
	v_add_f64_e32 v[93:94], v[144:145], v[93:94]
	v_add_f64_e32 v[95:96], v[58:59], v[95:96]
	v_mul_f64_e32 v[144:145], s[12:13], v[146:147]
	v_mul_f64_e32 v[146:147], s[26:27], v[146:147]
	v_add_f64_e64 v[58:59], v[12:13], -v[24:25]
	v_mul_f64_e32 v[12:13], s[26:27], v[148:149]
	v_add_f64_e32 v[69:70], v[69:70], v[113:114]
	v_add_f64_e32 v[81:82], v[81:82], v[115:116]
	v_mul_f64_e32 v[148:149], s[12:13], v[166:167]
	v_mul_f64_e32 v[113:114], s[16:17], v[166:167]
	;; [unrolled: 1-line block ×4, first 2 shown]
	v_add_f64_e32 v[40:41], v[42:43], v[128:129]
	v_add_f64_e64 v[42:43], v[42:43], -v[128:129]
	v_mul_f64_e32 v[184:185], s[20:21], v[160:161]
	v_mul_f64_e32 v[216:217], s[38:39], v[160:161]
	;; [unrolled: 1-line block ×9, first 2 shown]
	v_fma_f64 v[194:195], v[8:9], s[6:7], -v[97:98]
	v_fma_f64 v[97:98], v[8:9], s[6:7], v[97:98]
	v_fma_f64 v[196:197], v[10:11], s[6:7], v[99:100]
	v_fma_f64 v[99:100], v[10:11], s[6:7], -v[99:100]
	v_fma_f64 v[200:201], v[10:11], s[18:19], v[170:171]
	v_fma_f64 v[202:203], v[8:9], s[24:25], -v[172:173]
	v_fma_f64 v[170:171], v[10:11], s[18:19], -v[170:171]
	v_fma_f64 v[172:173], v[8:9], s[24:25], v[172:173]
	v_fma_f64 v[204:205], v[10:11], s[24:25], v[174:175]
	v_fma_f64 v[206:207], v[8:9], s[22:23], -v[176:177]
	v_fma_f64 v[174:175], v[10:11], s[24:25], -v[174:175]
	v_fma_f64 v[176:177], v[8:9], s[22:23], v[176:177]
	v_fma_f64 v[208:209], v[10:11], s[22:23], v[178:179]
	v_fma_f64 v[210:211], v[8:9], s[14:15], -v[180:181]
	v_add_f64_e32 v[93:94], v[93:94], v[124:125]
	v_add_f64_e32 v[95:96], v[95:96], v[126:127]
	v_mul_f64_e32 v[124:125], s[30:31], v[166:167]
	v_mul_f64_e32 v[126:127], s[36:37], v[168:169]
	v_fma_f64 v[198:199], v[8:9], s[18:19], -v[144:145]
	v_fma_f64 v[144:145], v[8:9], s[18:19], v[144:145]
	v_fma_f64 v[178:179], v[10:11], s[22:23], -v[178:179]
	v_fma_f64 v[180:181], v[8:9], s[14:15], v[180:181]
	v_fma_f64 v[212:213], v[10:11], s[14:15], v[182:183]
	v_fma_f64 v[214:215], v[8:9], s[28:29], -v[146:147]
	v_fma_f64 v[182:183], v[10:11], s[14:15], -v[182:183]
	v_fma_f64 v[8:9], v[8:9], s[28:29], v[146:147]
	v_fma_f64 v[146:147], v[10:11], s[28:29], v[12:13]
	v_mul_f64_e32 v[168:169], s[34:35], v[168:169]
	v_fma_f64 v[10:11], v[10:11], s[28:29], -v[12:13]
	v_mul_f64_e32 v[12:13], s[34:35], v[166:167]
	v_add_f64_e32 v[69:70], v[69:70], v[128:129]
	v_add_f64_e32 v[81:82], v[81:82], v[130:131]
	v_fma_f64 v[166:167], v[162:163], s[18:19], -v[14:15]
	v_fma_f64 v[128:129], v[164:165], s[18:19], v[148:149]
	v_fma_f64 v[14:15], v[162:163], s[18:19], v[14:15]
	v_fma_f64 v[130:131], v[164:165], s[18:19], -v[148:149]
	v_fma_f64 v[148:149], v[162:163], s[22:23], -v[186:187]
	;; [unrolled: 1-line block ×3, first 2 shown]
	v_add_f64_e32 v[194:195], v[4:5], v[194:195]
	v_add_f64_e32 v[97:98], v[4:5], v[97:98]
	;; [unrolled: 1-line block ×16, first 2 shown]
	v_fma_f64 v[132:133], v[164:165], s[22:23], v[113:114]
	v_fma_f64 v[134:135], v[162:163], s[22:23], v[186:187]
	v_fma_f64 v[113:114], v[164:165], s[22:23], -v[113:114]
	v_fma_f64 v[186:187], v[162:163], s[28:29], -v[115:116]
	v_add_f64_e32 v[198:199], v[4:5], v[198:199]
	v_add_f64_e32 v[144:145], v[4:5], v[144:145]
	v_add_f64_e32 v[178:179], v[6:7], v[178:179]
	v_add_f64_e32 v[212:213], v[6:7], v[212:213]
	v_add_f64_e32 v[180:181], v[4:5], v[180:181]
	v_add_f64_e32 v[182:183], v[6:7], v[182:183]
	v_add_f64_e32 v[214:215], v[4:5], v[214:215]
	v_add_f64_e32 v[146:147], v[6:7], v[146:147]
	v_add_f64_e32 v[4:5], v[4:5], v[8:9]
	v_add_f64_e32 v[6:7], v[6:7], v[10:11]
	v_fma_f64 v[8:9], v[164:165], s[28:29], v[188:189]
	v_fma_f64 v[10:11], v[162:163], s[28:29], v[115:116]
	v_fma_f64 v[115:116], v[164:165], s[28:29], -v[188:189]
	v_fma_f64 v[188:189], v[162:163], s[14:15], -v[190:191]
	v_add_f64_e32 v[136:137], v[69:70], v[136:137]
	v_add_f64_e32 v[138:139], v[81:82], v[138:139]
	v_fma_f64 v[69:70], v[164:165], s[14:15], v[124:125]
	v_fma_f64 v[81:82], v[162:163], s[14:15], v[190:191]
	v_fma_f64 v[124:125], v[164:165], s[14:15], -v[124:125]
	v_fma_f64 v[190:191], v[162:163], s[24:25], -v[126:127]
	v_fma_f64 v[184:185], v[154:155], s[24:25], v[184:185]
	v_fma_f64 v[226:227], v[154:155], s[22:23], -v[216:217]
	v_fma_f64 v[216:217], v[154:155], s[22:23], v[216:217]
	;; [unrolled: 2-line block ×4, first 2 shown]
	v_fma_f64 v[244:245], v[156:157], s[28:29], v[234:235]
	v_fma_f64 v[234:235], v[156:157], s[28:29], -v[234:235]
	v_fma_f64 v[246:247], v[156:157], s[22:23], v[236:237]
	v_fma_f64 v[236:237], v[156:157], s[22:23], -v[236:237]
	v_fma_f64 v[248:249], v[156:157], s[6:7], v[238:239]
	v_add_f64_e32 v[140:141], v[93:94], v[140:141]
	v_add_f64_e32 v[142:143], v[95:96], v[142:143]
	v_fma_f64 v[93:94], v[164:165], s[24:25], v[192:193]
	v_fma_f64 v[95:96], v[162:163], s[24:25], v[126:127]
	v_fma_f64 v[126:127], v[164:165], s[24:25], -v[192:193]
	v_fma_f64 v[192:193], v[162:163], s[6:7], -v[168:169]
	v_fma_f64 v[162:163], v[162:163], s[6:7], v[168:169]
	v_fma_f64 v[168:169], v[164:165], s[6:7], v[12:13]
	v_fma_f64 v[12:13], v[164:165], s[6:7], -v[12:13]
	v_mul_f64_e32 v[164:165], s[26:27], v[160:161]
	v_mul_f64_e32 v[160:161], s[10:11], v[160:161]
	v_fma_f64 v[238:239], v[156:157], s[6:7], -v[238:239]
	v_fma_f64 v[250:251], v[156:157], s[18:19], v[240:241]
	v_fma_f64 v[240:241], v[156:157], s[18:19], -v[240:241]
	v_add_f64_e32 v[113:114], v[113:114], v[170:171]
	v_add_f64_e32 v[14:15], v[14:15], v[97:98]
	v_mul_f64_e32 v[97:98], s[6:7], v[91:92]
	v_add_f64_e32 v[128:129], v[128:129], v[196:197]
	v_add_f64_e32 v[115:116], v[115:116], v[174:175]
	;; [unrolled: 1-line block ×11, first 2 shown]
	v_mul_f64_e32 v[190:191], s[10:11], v[79:80]
	v_add_f64_e32 v[132:133], v[132:133], v[200:201]
	v_add_f64_e32 v[124:125], v[124:125], v[178:179]
	v_mul_f64_e32 v[196:197], s[36:37], v[83:84]
	v_mul_f64_e32 v[198:199], s[36:37], v[79:80]
	;; [unrolled: 1-line block ×5, first 2 shown]
	v_add_f64_e32 v[20:21], v[140:141], v[20:21]
	v_add_f64_e32 v[22:23], v[142:143], v[22:23]
	;; [unrolled: 1-line block ×3, first 2 shown]
	v_mul_f64_e32 v[93:94], s[2:3], v[89:90]
	v_add_f64_e32 v[176:177], v[95:96], v[180:181]
	v_add_f64_e32 v[126:127], v[126:127], v[182:183]
	;; [unrolled: 1-line block ×5, first 2 shown]
	v_fma_f64 v[224:225], v[154:155], s[28:29], -v[164:165]
	v_fma_f64 v[164:165], v[154:155], s[28:29], v[164:165]
	v_fma_f64 v[232:233], v[154:155], s[14:15], -v[160:161]
	v_fma_f64 v[154:155], v[154:155], s[14:15], v[160:161]
	v_mul_f64_e32 v[160:161], s[20:21], v[158:159]
	v_mul_f64_e32 v[158:159], s[10:11], v[158:159]
	v_mul_f64_e32 v[168:169], s[16:17], v[150:151]
	v_fma_f64 v[12:13], v[58:59], s[2:3], v[97:98]
	v_add_f64_e32 v[14:15], v[184:185], v[14:15]
	v_mul_f64_e32 v[180:181], s[30:31], v[152:153]
	v_mul_f64_e32 v[182:183], s[10:11], v[83:84]
	;; [unrolled: 1-line block ×3, first 2 shown]
	v_add_f64_e32 v[178:179], v[192:193], v[214:215]
	v_add_f64_e32 v[113:114], v[234:235], v[113:114]
	;; [unrolled: 1-line block ×9, first 2 shown]
	v_mul_f64_e32 v[212:213], s[34:35], v[79:80]
	v_mul_f64_e32 v[216:217], s[16:17], v[83:84]
	;; [unrolled: 1-line block ×3, first 2 shown]
	v_add_f64_e32 v[124:125], v[238:239], v[124:125]
	v_add_f64_e32 v[172:173], v[230:231], v[172:173]
	;; [unrolled: 1-line block ×3, first 2 shown]
	v_fma_f64 v[81:82], v[54:55], s[6:7], -v[93:94]
	v_add_f64_e32 v[176:177], v[220:221], v[176:177]
	v_add_f64_e32 v[126:127], v[240:241], v[126:127]
	;; [unrolled: 1-line block ×4, first 2 shown]
	v_mul_f64_e32 v[164:165], s[34:35], v[150:151]
	v_add_f64_e32 v[4:5], v[154:155], v[4:5]
	v_fma_f64 v[242:243], v[156:157], s[24:25], v[160:161]
	v_fma_f64 v[160:161], v[156:157], s[24:25], -v[160:161]
	v_fma_f64 v[252:253], v[156:157], s[14:15], v[158:159]
	v_fma_f64 v[156:157], v[156:157], s[14:15], -v[158:159]
	v_add_f64_e32 v[158:159], v[166:167], v[194:195]
	v_add_f64_e32 v[166:167], v[69:70], v[208:209]
	v_mul_f64_e32 v[69:70], s[12:13], v[77:78]
	v_add_f64_e32 v[12:13], v[2:3], v[12:13]
	v_fma_f64 v[188:189], v[109:110], s[22:23], v[168:169]
	v_fma_f64 v[168:169], v[109:110], s[22:23], -v[168:169]
	v_fma_f64 v[192:193], v[111:112], s[14:15], -v[180:181]
	v_fma_f64 v[180:181], v[111:112], s[14:15], v[180:181]
	v_fma_f64 v[200:201], v[111:112], s[6:7], -v[184:185]
	v_fma_f64 v[184:185], v[111:112], s[6:7], v[184:185]
	v_add_f64_e32 v[178:179], v[232:233], v[178:179]
	v_add_f64_e32 v[81:82], v[0:1], v[81:82]
	;; [unrolled: 1-line block ×4, first 2 shown]
	v_mul_f64_e32 v[160:161], s[30:31], v[150:151]
	v_add_f64_e32 v[6:7], v[156:157], v[6:7]
	v_add_f64_e32 v[146:147], v[252:253], v[146:147]
	;; [unrolled: 1-line block ×3, first 2 shown]
	v_fma_f64 v[95:96], v[46:47], s[18:19], -v[69:70]
	v_mul_f64_e32 v[156:157], s[26:27], v[105:106]
	v_add_f64_e32 v[130:131], v[192:193], v[130:131]
	v_fma_f64 v[192:193], v[87:88], s[24:25], -v[196:197]
	v_add_f64_e32 v[134:135], v[180:181], v[134:135]
	v_add_f64_e32 v[144:145], v[200:201], v[144:145]
	v_fma_f64 v[196:197], v[87:88], s[24:25], v[196:197]
	v_mul_f64_e32 v[180:181], s[20:21], v[152:153]
	v_add_f64_e32 v[10:11], v[184:185], v[10:11]
	v_mul_f64_e32 v[184:185], s[10:11], v[107:108]
	v_add_f64_e32 v[128:129], v[188:189], v[128:129]
	v_add_f64_e32 v[168:169], v[168:169], v[99:100]
	v_fma_f64 v[194:195], v[109:110], s[14:15], v[160:161]
	v_fma_f64 v[160:161], v[109:110], s[14:15], -v[160:161]
	v_fma_f64 v[99:100], v[85:86], s[14:15], v[190:191]
	v_mul_f64_e32 v[188:189], s[12:13], v[79:80]
	v_add_f64_e32 v[162:163], v[95:96], v[81:82]
	v_mul_f64_e32 v[81:82], s[18:19], v[75:76]
	v_fma_f64 v[190:191], v[85:86], s[14:15], -v[190:191]
	v_mul_f64_e32 v[79:80], s[14:15], v[56:57]
	v_add_f64_e32 v[130:131], v[192:193], v[130:131]
	v_add_f64_e32 v[134:135], v[196:197], v[134:135]
	v_fma_f64 v[192:193], v[111:112], s[24:25], -v[180:181]
	v_fma_f64 v[180:181], v[111:112], s[24:25], v[180:181]
	v_add_f64_e32 v[132:133], v[194:195], v[132:133]
	v_add_f64_e32 v[113:114], v[160:161], v[113:114]
	v_fma_f64 v[160:161], v[85:86], s[24:25], v[198:199]
	v_fma_f64 v[198:199], v[85:86], s[24:25], -v[198:199]
	v_add_f64_e32 v[128:129], v[99:100], v[128:129]
	v_fma_f64 v[95:96], v[48:49], s[12:13], v[81:82]
	v_fma_f64 v[200:201], v[85:86], s[18:19], v[188:189]
	v_mul_f64_e32 v[99:100], s[24:25], v[71:72]
	v_mul_f64_e32 v[194:195], s[20:21], v[150:151]
	v_add_f64_e32 v[168:169], v[190:191], v[168:169]
	v_mul_f64_e32 v[190:191], s[42:43], v[150:151]
	v_mul_f64_e32 v[150:151], s[40:41], v[150:151]
	v_fma_f64 v[188:189], v[85:86], s[18:19], -v[188:189]
	v_add_f64_e32 v[148:149], v[192:193], v[148:149]
	v_fma_f64 v[192:193], v[85:86], s[28:29], v[204:205]
	v_fma_f64 v[204:205], v[85:86], s[28:29], -v[204:205]
	v_add_f64_e32 v[170:171], v[180:181], v[170:171]
	v_add_f64_e32 v[132:133], v[160:161], v[132:133]
	;; [unrolled: 1-line block ×3, first 2 shown]
	v_mul_f64_e32 v[160:161], s[26:27], v[107:108]
	v_add_f64_e32 v[12:13], v[95:96], v[12:13]
	v_add_f64_e32 v[95:96], v[222:223], v[158:159]
	v_mul_f64_e32 v[158:159], s[16:17], v[152:153]
	v_fma_f64 v[113:114], v[109:110], s[24:25], v[194:195]
	v_fma_f64 v[194:195], v[109:110], s[24:25], -v[194:195]
	v_fma_f64 v[208:209], v[109:110], s[28:29], v[190:191]
	v_fma_f64 v[190:191], v[109:110], s[28:29], -v[190:191]
	;; [unrolled: 2-line block ×3, first 2 shown]
	v_fma_f64 v[158:159], v[111:112], s[22:23], v[158:159]
	v_add_f64_e32 v[113:114], v[113:114], v[166:167]
	v_add_f64_e32 v[174:175], v[208:209], v[174:175]
	;; [unrolled: 1-line block ×3, first 2 shown]
	v_fma_f64 v[190:191], v[85:86], s[6:7], v[212:213]
	v_fma_f64 v[208:209], v[87:88], s[6:7], v[210:211]
	v_mul_f64_e32 v[166:167], s[10:11], v[105:106]
	v_add_f64_e32 v[124:125], v[194:195], v[124:125]
	v_mul_f64_e32 v[194:195], s[40:41], v[107:108]
	v_add_f64_e32 v[146:147], v[154:155], v[146:147]
	;; [unrolled: 2-line block ×3, first 2 shown]
	v_fma_f64 v[95:96], v[109:110], s[6:7], v[164:165]
	v_add_f64_e32 v[14:15], v[158:159], v[14:15]
	v_fma_f64 v[158:159], v[87:88], s[14:15], -v[182:183]
	v_fma_f64 v[182:183], v[87:88], s[14:15], v[182:183]
	v_fma_f64 v[164:165], v[109:110], s[6:7], -v[164:165]
	v_fma_f64 v[109:110], v[109:110], s[18:19], -v[150:151]
	v_mul_f64_e32 v[150:151], s[34:35], v[105:106]
	v_add_f64_e32 v[174:175], v[190:191], v[174:175]
	v_add_f64_e32 v[8:9], v[95:96], v[8:9]
	v_mul_f64_e32 v[95:96], s[20:21], v[73:74]
	v_add_f64_e32 v[158:159], v[158:159], v[186:187]
	v_fma_f64 v[186:187], v[87:88], s[18:19], -v[202:203]
	v_add_f64_e32 v[14:15], v[182:183], v[14:15]
	v_mul_f64_e32 v[182:183], s[42:43], v[152:153]
	v_mul_f64_e32 v[152:153], s[40:41], v[152:153]
	v_add_f64_e32 v[115:116], v[164:165], v[115:116]
	v_fma_f64 v[164:165], v[87:88], s[18:19], v[202:203]
	v_add_f64_e32 v[6:7], v[109:110], v[6:7]
	v_fma_f64 v[109:110], v[85:86], s[22:23], v[218:219]
	v_mul_f64_e32 v[202:203], s[40:41], v[105:106]
	v_mul_f64_e32 v[105:106], s[36:37], v[105:106]
	v_add_f64_e32 v[198:199], v[200:201], v[8:9]
	v_add_f64_e32 v[8:9], v[136:137], v[28:29]
	;; [unrolled: 1-line block ×4, first 2 shown]
	v_fma_f64 v[186:187], v[44:45], s[24:25], -v[95:96]
	v_fma_f64 v[138:139], v[50:51], s[20:21], v[99:100]
	v_mul_f64_e32 v[28:29], s[16:17], v[67:68]
	v_mul_f64_e32 v[30:31], s[22:23], v[65:66]
	v_fma_f64 v[206:207], v[111:112], s[28:29], -v[182:183]
	v_fma_f64 v[182:183], v[111:112], s[28:29], v[182:183]
	v_fma_f64 v[214:215], v[111:112], s[18:19], -v[152:153]
	v_fma_f64 v[111:112], v[111:112], s[18:19], v[152:153]
	v_mul_f64_e32 v[200:201], s[42:43], v[83:84]
	v_add_f64_e32 v[164:165], v[164:165], v[10:11]
	v_mul_f64_e32 v[83:84], s[26:27], v[38:39]
	v_mul_f64_e32 v[152:153], s[34:35], v[107:108]
	v_add_f64_e32 v[115:116], v[188:189], v[115:116]
	v_fma_f64 v[188:189], v[103:104], s[14:15], -v[184:185]
	v_fma_f64 v[190:191], v[101:102], s[18:19], v[202:203]
	v_add_f64_e32 v[146:147], v[109:110], v[146:147]
	v_fma_f64 v[220:221], v[101:102], s[24:25], v[105:106]
	v_fma_f64 v[222:223], v[101:102], s[24:25], -v[105:106]
	v_fma_f64 v[202:203], v[101:102], s[18:19], -v[202:203]
	v_fma_f64 v[184:185], v[103:104], s[14:15], v[184:185]
	v_add_f64_e32 v[8:9], v[8:9], v[24:25]
	v_add_f64_e32 v[162:163], v[186:187], v[162:163]
	;; [unrolled: 1-line block ×3, first 2 shown]
	v_fma_f64 v[138:139], v[40:41], s[22:23], -v[28:29]
	v_fma_f64 v[186:187], v[42:43], s[16:17], v[30:31]
	v_add_f64_e32 v[172:173], v[206:207], v[172:173]
	v_add_f64_e32 v[176:177], v[182:183], v[176:177]
	v_fma_f64 v[182:183], v[87:88], s[6:7], -v[210:211]
	v_fma_f64 v[210:211], v[85:86], s[6:7], -v[212:213]
	v_add_f64_e32 v[4:5], v[111:112], v[4:5]
	v_fma_f64 v[111:112], v[87:88], s[22:23], -v[216:217]
	v_fma_f64 v[212:213], v[87:88], s[22:23], v[216:217]
	v_fma_f64 v[216:217], v[85:86], s[22:23], -v[218:219]
	v_mul_f64_e32 v[85:86], s[28:29], v[36:37]
	v_fma_f64 v[180:181], v[87:88], s[28:29], -v[200:201]
	v_fma_f64 v[200:201], v[87:88], s[28:29], v[200:201]
	v_mul_f64_e32 v[206:207], s[16:17], v[107:108]
	v_add_f64_e32 v[178:179], v[214:215], v[178:179]
	v_mul_f64_e32 v[107:108], s[36:37], v[107:108]
	v_fma_f64 v[214:215], v[103:104], s[28:29], -v[160:161]
	v_fma_f64 v[218:219], v[101:102], s[28:29], v[156:157]
	v_fma_f64 v[160:161], v[103:104], s[28:29], v[160:161]
	v_fma_f64 v[156:157], v[101:102], s[28:29], -v[156:157]
	v_add_f64_e32 v[109:110], v[188:189], v[144:145]
	v_add_f64_e32 v[10:11], v[138:139], v[162:163]
	;; [unrolled: 1-line block ×3, first 2 shown]
	v_fma_f64 v[138:139], v[32:33], s[14:15], -v[62:63]
	v_fma_f64 v[162:163], v[34:35], s[10:11], v[79:80]
	v_add_f64_e32 v[186:187], v[192:193], v[113:114]
	v_fma_f64 v[113:114], v[101:102], s[6:7], v[150:151]
	v_add_f64_e32 v[192:193], v[204:205], v[124:125]
	;; [unrolled: 2-line block ×3, first 2 shown]
	v_fma_f64 v[182:183], v[103:104], s[18:19], -v[194:195]
	v_fma_f64 v[226:227], v[18:19], s[26:27], v[85:86]
	v_add_f64_e32 v[148:149], v[180:181], v[148:149]
	v_fma_f64 v[180:181], v[103:104], s[6:7], -v[152:153]
	v_fma_f64 v[152:153], v[103:104], s[6:7], v[152:153]
	v_add_f64_e32 v[170:171], v[200:201], v[170:171]
	v_add_f64_e32 v[176:177], v[208:209], v[176:177]
	v_fma_f64 v[200:201], v[103:104], s[22:23], -v[206:207]
	v_fma_f64 v[208:209], v[101:102], s[22:23], v[154:155]
	v_add_f64_e32 v[204:205], v[210:211], v[126:127]
	v_add_f64_e32 v[178:179], v[111:112], v[178:179]
	v_fma_f64 v[210:211], v[103:104], s[24:25], -v[107:108]
	v_add_f64_e32 v[212:213], v[212:213], v[4:5]
	v_add_f64_e32 v[216:217], v[216:217], v[6:7]
	v_fma_f64 v[107:108], v[103:104], s[24:25], v[107:108]
	v_fma_f64 v[206:207], v[103:104], s[22:23], v[206:207]
	v_fma_f64 v[154:155], v[101:102], s[22:23], -v[154:155]
	v_fma_f64 v[194:195], v[103:104], s[18:19], v[194:195]
	v_fma_f64 v[166:167], v[101:102], s[14:15], -v[166:167]
	v_fma_f64 v[150:151], v[101:102], s[6:7], -v[150:151]
	v_add_f64_e32 v[4:5], v[160:161], v[14:15]
	v_add_f64_e32 v[6:7], v[156:157], v[168:169]
	;; [unrolled: 1-line block ×5, first 2 shown]
	v_fma_f64 v[12:13], v[16:17], s[28:29], -v[83:84]
	v_add_f64_e32 v[10:11], v[136:137], v[26:27]
	v_add_f64_e32 v[26:27], v[218:219], v[128:129]
	;; [unrolled: 1-line block ×21, first 2 shown]
	ds_store_b128 v61, v[20:23]
	ds_store_b128 v61, v[24:27] offset:16
	ds_store_b128 v61, v[101:104] offset:32
	;; [unrolled: 1-line block ×12, first 2 shown]
	v_add_f64_e32 v[12:13], v[12:13], v[224:225]
	v_add_f64_e32 v[14:15], v[226:227], v[162:163]
	v_cmpx_gt_u32_e32 3, v60
	s_cbranch_execz .LBB0_14
; %bb.13:
	v_mul_f64_e32 v[124:125], s[28:29], v[91:92]
	v_mul_f64_e32 v[109:110], s[26:27], v[89:90]
	;; [unrolled: 1-line block ×38, first 2 shown]
	v_fma_f64 v[160:161], v[58:59], s[42:43], v[124:125]
	v_fma_f64 v[162:163], v[54:55], s[28:29], v[109:110]
	;; [unrolled: 1-line block ×6, first 2 shown]
	v_fma_f64 v[109:110], v[54:55], s[28:29], -v[109:110]
	v_fma_f64 v[220:221], v[58:59], s[30:31], v[113:114]
	v_fma_f64 v[222:223], v[54:55], s[14:15], v[115:116]
	v_fma_f64 v[113:114], v[58:59], s[10:11], v[113:114]
	v_fma_f64 v[115:116], v[54:55], s[14:15], -v[115:116]
	v_fma_f64 v[228:229], v[58:59], s[38:39], v[126:127]
	v_fma_f64 v[230:231], v[54:55], s[22:23], v[128:129]
	v_fma_f64 v[126:127], v[58:59], s[16:17], v[126:127]
	v_fma_f64 v[128:129], v[54:55], s[22:23], -v[128:129]
	v_fma_f64 v[232:233], v[58:59], s[36:37], v[134:135]
	v_fma_f64 v[134:135], v[58:59], s[20:21], v[134:135]
	v_fma_f64 v[236:237], v[58:59], s[40:41], v[91:92]
	v_fma_f64 v[238:239], v[54:55], s[18:19], v[89:90]
	v_fma_f64 v[58:59], v[58:59], s[12:13], v[91:92]
	v_add_f64_e64 v[24:25], v[97:98], -v[24:25]
	v_mul_f64_e32 v[166:167], s[40:41], v[67:68]
	v_fma_f64 v[224:225], v[50:51], s[30:31], v[103:104]
	v_fma_f64 v[226:227], v[44:45], s[14:15], v[105:106]
	;; [unrolled: 1-line block ×3, first 2 shown]
	v_fma_f64 v[107:108], v[46:47], s[6:7], -v[107:108]
	v_fma_f64 v[234:235], v[54:55], s[24:25], v[136:137]
	v_fma_f64 v[136:137], v[54:55], s[24:25], -v[136:137]
	v_fma_f64 v[54:55], v[54:55], s[18:19], -v[89:90]
	v_add_f64_e32 v[22:23], v[22:23], v[93:94]
	v_fma_f64 v[89:90], v[50:51], s[40:41], v[130:131]
	v_fma_f64 v[91:92], v[48:49], s[20:21], v[132:133]
	v_fma_f64 v[97:98], v[46:47], s[24:25], v[140:141]
	v_fma_f64 v[130:131], v[50:51], s[12:13], v[130:131]
	v_fma_f64 v[132:133], v[48:49], s[36:37], v[132:133]
	v_fma_f64 v[140:141], v[46:47], s[24:25], -v[140:141]
	v_fma_f64 v[240:241], v[50:51], s[2:3], v[142:143]
	v_fma_f64 v[242:243], v[48:49], s[10:11], v[144:145]
	v_add_f64_e32 v[160:161], v[2:3], v[160:161]
	v_add_f64_e32 v[162:163], v[0:1], v[162:163]
	;; [unrolled: 1-line block ×3, first 2 shown]
	v_fma_f64 v[142:143], v[50:51], s[34:35], v[142:143]
	v_fma_f64 v[144:145], v[48:49], s[30:31], v[144:145]
	v_fma_f64 v[244:245], v[48:49], s[42:43], v[152:153]
	v_add_f64_e32 v[109:110], v[0:1], v[109:110]
	v_add_f64_e32 v[220:221], v[2:3], v[220:221]
	;; [unrolled: 1-line block ×3, first 2 shown]
	v_fma_f64 v[248:249], v[46:47], s[28:29], v[156:157]
	v_add_f64_e32 v[113:114], v[2:3], v[113:114]
	v_add_f64_e32 v[115:116], v[0:1], v[115:116]
	v_fma_f64 v[152:153], v[48:49], s[26:27], v[152:153]
	v_add_f64_e32 v[228:229], v[2:3], v[228:229]
	v_fma_f64 v[156:157], v[46:47], s[28:29], -v[156:157]
	v_fma_f64 v[250:251], v[50:51], s[42:43], v[71:72]
	v_add_f64_e32 v[230:231], v[0:1], v[230:231]
	v_add_f64_e32 v[128:129], v[0:1], v[128:129]
	v_fma_f64 v[252:253], v[46:47], s[22:23], -v[77:78]
	v_add_f64_e32 v[232:233], v[2:3], v[232:233]
	v_add_f64_e32 v[134:135], v[2:3], v[134:135]
	;; [unrolled: 1-line block ×3, first 2 shown]
	v_add_f64_e64 v[20:21], v[81:82], -v[20:21]
	scratch_store_b64 off, v[87:88], off    ; 8-byte Folded Spill
	v_dual_mov_b32 v169, v84 :: v_dual_mov_b32 v168, v83
	v_dual_mov_b32 v84, v63 :: v_dual_mov_b32 v83, v62
	;; [unrolled: 1-line block ×6, first 2 shown]
	v_mov_b32_e32 v118, v122
	v_mov_b32_e32 v122, v120
	v_add_f64_e32 v[160:161], v[216:217], v[160:161]
	v_add_f64_e32 v[162:163], v[218:219], v[162:163]
	;; [unrolled: 1-line block ×3, first 2 shown]
	v_fma_f64 v[216:217], v[46:47], s[14:15], v[148:149]
	v_fma_f64 v[148:149], v[46:47], s[14:15], -v[148:149]
	v_fma_f64 v[218:219], v[50:51], s[16:17], v[150:151]
	v_fma_f64 v[150:151], v[50:51], s[38:39], v[150:151]
	;; [unrolled: 1-line block ×3, first 2 shown]
	v_add_f64_e32 v[71:72], v[2:3], v[126:127]
	v_fma_f64 v[126:127], v[48:49], s[16:17], v[75:76]
	v_fma_f64 v[48:49], v[48:49], s[38:39], v[75:76]
	v_add_f64_e32 v[75:76], v[2:3], v[236:237]
	v_fma_f64 v[46:47], v[46:47], s[22:23], v[77:78]
	v_add_f64_e32 v[77:78], v[0:1], v[238:239]
	v_add_f64_e32 v[2:3], v[2:3], v[24:25]
	v_mov_b32_e32 v119, v254
	v_mul_f64_e32 v[170:171], s[16:17], v[42:43]
	v_mul_f64_e32 v[180:181], s[22:23], v[56:57]
	;; [unrolled: 1-line block ×9, first 2 shown]
	v_fma_f64 v[105:106], v[44:45], s[14:15], -v[105:106]
	v_fma_f64 v[93:94], v[44:45], s[18:19], v[138:139]
	v_fma_f64 v[138:139], v[44:45], s[18:19], -v[138:139]
	v_fma_f64 v[124:125], v[44:45], s[6:7], v[146:147]
	;; [unrolled: 2-line block ×3, first 2 shown]
	v_fma_f64 v[154:155], v[44:45], s[22:23], -v[154:155]
	v_mov_b32_e32 v120, v255
	v_fma_f64 v[254:255], v[42:43], s[12:13], v[164:165]
	v_fma_f64 v[61:62], v[40:41], s[18:19], v[166:167]
	;; [unrolled: 1-line block ×3, first 2 shown]
	v_add_f64_e32 v[136:137], v[0:1], v[136:137]
	v_add_f64_e32 v[54:55], v[0:1], v[54:55]
	;; [unrolled: 1-line block ×11, first 2 shown]
	v_fma_f64 v[22:23], v[44:45], s[28:29], v[73:74]
	v_add_f64_e32 v[69:70], v[132:133], v[113:114]
	v_fma_f64 v[44:45], v[44:45], s[28:29], -v[73:74]
	v_add_f64_e32 v[73:74], v[140:141], v[115:116]
	v_add_f64_e64 v[81:82], v[99:100], -v[101:102]
	v_add_f64_e32 v[26:27], v[26:27], v[95:96]
	v_add_f64_e32 v[95:96], v[242:243], v[228:229]
	;; [unrolled: 1-line block ×8, first 2 shown]
	v_mul_f64_e32 v[172:173], s[22:23], v[40:41]
	v_mul_f64_e32 v[174:175], s[10:11], v[34:35]
	;; [unrolled: 1-line block ×4, first 2 shown]
	v_fma_f64 v[99:100], v[34:35], s[38:39], v[180:181]
	v_fma_f64 v[101:102], v[40:41], s[18:19], -v[166:167]
	v_fma_f64 v[115:116], v[42:43], s[26:27], v[182:183]
	v_fma_f64 v[132:133], v[40:41], s[28:29], v[184:185]
	;; [unrolled: 1-line block ×3, first 2 shown]
	v_add_f64_e32 v[58:59], v[126:127], v[58:59]
	v_fma_f64 v[126:127], v[40:41], s[24:25], v[206:207]
	v_fma_f64 v[152:153], v[40:41], s[6:7], -v[212:213]
	v_add_f64_e64 v[30:31], v[30:31], -v[170:171]
	v_mul_f64_e32 v[65:66], s[14:15], v[65:66]
	v_add_f64_e32 v[148:149], v[244:245], v[232:233]
	v_add_f64_e32 v[54:55], v[252:253], v[54:55]
	;; [unrolled: 1-line block ×9, first 2 shown]
	v_fma_f64 v[109:110], v[42:43], s[36:37], v[202:203]
	v_add_f64_e32 v[0:1], v[24:25], v[0:1]
	v_fma_f64 v[24:25], v[40:41], s[28:29], -v[184:185]
	v_add_f64_e32 v[69:70], v[130:131], v[69:70]
	v_fma_f64 v[130:131], v[42:43], s[20:21], v[202:203]
	v_add_f64_e32 v[73:74], v[138:139], v[73:74]
	v_fma_f64 v[138:139], v[40:41], s[24:25], -v[206:207]
	v_fma_f64 v[160:161], v[40:41], s[14:15], -v[67:68]
	v_add_f64_e32 v[95:96], v[240:241], v[95:96]
	v_add_f64_e32 v[113:114], v[124:125], v[113:114]
	;; [unrolled: 1-line block ×3, first 2 shown]
	v_fma_f64 v[142:143], v[40:41], s[6:7], v[212:213]
	v_add_f64_e32 v[128:129], v[146:147], v[128:129]
	v_fma_f64 v[146:147], v[42:43], s[34:35], v[210:211]
	v_add_f64_e32 v[134:135], v[150:151], v[134:135]
	;; [unrolled: 2-line block ×3, first 2 shown]
	v_add_f64_e32 v[2:3], v[81:82], v[2:3]
	v_add_f64_e32 v[48:49], v[48:49], v[75:76]
	v_mul_f64_e32 v[186:187], s[16:17], v[52:53]
	v_mul_f64_e32 v[194:195], s[6:7], v[56:57]
	;; [unrolled: 1-line block ×5, first 2 shown]
	v_add_f64_e32 v[50:51], v[50:51], v[58:59]
	v_mul_f64_e32 v[56:57], s[24:25], v[56:57]
	v_mul_f64_e32 v[52:53], s[36:37], v[52:53]
	v_add_f64_e32 v[105:106], v[105:106], v[107:108]
	v_fma_f64 v[77:78], v[42:43], s[42:43], v[182:183]
	v_fma_f64 v[156:157], v[42:43], s[30:31], v[65:66]
	v_add_f64_e32 v[44:45], v[44:45], v[54:55]
	v_fma_f64 v[124:125], v[42:43], s[2:3], v[210:211]
	v_add_f64_e32 v[58:59], v[115:116], v[89:90]
	v_add_f64_e32 v[89:90], v[132:133], v[91:92]
	;; [unrolled: 1-line block ×3, first 2 shown]
	v_fma_f64 v[99:100], v[34:35], s[42:43], v[200:201]
	v_add_f64_e32 v[93:94], v[144:145], v[97:98]
	v_add_f64_e32 v[97:98], v[246:247], v[103:104]
	v_add_f64_e32 v[148:149], v[218:219], v[148:149]
	v_add_f64_e32 v[136:137], v[154:155], v[136:137]
	v_mov_b32_e32 v255, v120
	v_fma_f64 v[42:43], v[42:43], s[10:11], v[65:66]
	v_mul_f64_e32 v[176:177], s[14:15], v[32:33]
	v_add_f64_e32 v[24:25], v[24:25], v[73:74]
	v_dual_mov_b32 v254, v119 :: v_dual_mov_b32 v119, v63
	v_add_f64_e32 v[73:74], v[109:110], v[95:96]
	v_add_f64_e32 v[95:96], v[126:127], v[113:114]
	;; [unrolled: 1-line block ×3, first 2 shown]
	v_fma_f64 v[126:127], v[34:35], s[12:13], v[208:209]
	v_add_f64_e32 v[103:104], v[138:139], v[128:129]
	v_mov_b32_e32 v120, v122
	v_add_f64_e32 v[128:129], v[146:147], v[134:135]
	v_mov_b32_e32 v122, v118
	v_add_f64_e32 v[22:23], v[40:41], v[22:23]
	v_add_f64_e64 v[40:41], v[85:86], -v[174:175]
	v_add_f64_e32 v[2:3], v[30:31], v[2:3]
	v_add_f64_e32 v[48:49], v[250:251], v[48:49]
	v_mov_b32_e32 v118, v28
	v_add_f64_e32 v[28:29], v[172:173], v[79:80]
	v_add_f64_e32 v[0:1], v[26:27], v[0:1]
	v_mul_f64_e32 v[188:189], s[24:25], v[36:37]
	v_mul_f64_e32 v[190:191], s[36:37], v[38:39]
	;; [unrolled: 1-line block ×4, first 2 shown]
	v_fma_f64 v[75:76], v[32:33], s[22:23], -v[186:187]
	v_add_f64_e32 v[54:55], v[101:102], v[105:106]
	v_add_f64_e32 v[46:47], v[77:78], v[69:70]
	v_mul_f64_e32 v[67:68], s[18:19], v[36:37]
	v_mul_f64_e32 v[77:78], s[40:41], v[38:39]
	v_fma_f64 v[81:82], v[32:33], s[28:29], v[204:205]
	v_fma_f64 v[101:102], v[32:33], s[28:29], -v[204:205]
	v_mul_f64_e32 v[105:106], s[14:15], v[36:37]
	v_mul_f64_e32 v[115:116], s[10:11], v[38:39]
	;; [unrolled: 1-line block ×4, first 2 shown]
	v_fma_f64 v[132:133], v[34:35], s[36:37], v[56:57]
	v_add_f64_e32 v[50:51], v[156:157], v[50:51]
	v_fma_f64 v[134:135], v[32:33], s[24:25], -v[52:53]
	v_add_f64_e32 v[44:45], v[160:161], v[44:45]
	v_fma_f64 v[109:110], v[34:35], s[40:41], v[208:209]
	v_add_f64_e32 v[113:114], v[124:125], v[148:149]
	v_fma_f64 v[130:131], v[32:33], s[18:19], -v[214:215]
	v_add_f64_e32 v[136:137], v[152:153], v[136:137]
	v_fma_f64 v[65:66], v[32:33], s[6:7], -v[198:199]
	v_fma_f64 v[69:70], v[34:35], s[26:27], v[200:201]
	v_add_f64_e32 v[71:72], v[99:100], v[71:72]
	v_fma_f64 v[20:21], v[34:35], s[2:3], v[194:195]
	v_fma_f64 v[26:27], v[34:35], s[34:35], v[194:195]
	;; [unrolled: 1-line block ×3, first 2 shown]
	v_add_f64_e32 v[99:100], v[126:127], v[128:129]
	v_fma_f64 v[111:112], v[32:33], s[6:7], v[198:199]
	v_fma_f64 v[124:125], v[32:33], s[18:19], v[214:215]
	v_add_f64_e32 v[97:98], v[142:143], v[97:98]
	v_add_f64_e32 v[126:127], v[40:41], v[2:3]
	scratch_load_b64 v[2:3], off, off th:TH_LOAD_LU ; 8-byte Folded Reload
	v_fma_f64 v[34:35], v[34:35], s[20:21], v[56:57]
	v_add_f64_e32 v[42:43], v[42:43], v[48:49]
	v_fma_f64 v[32:33], v[32:33], s[24:25], v[52:53]
	v_mul_f64_e32 v[178:179], s[26:27], v[18:19]
	v_add_f64_e32 v[30:31], v[176:177], v[83:84]
	v_add_f64_e32 v[0:1], v[28:29], v[0:1]
	v_fma_f64 v[28:29], v[16:17], s[24:25], -v[190:191]
	v_fma_f64 v[107:108], v[18:19], s[36:37], v[188:189]
	v_add_f64_e32 v[48:49], v[75:76], v[54:55]
	v_fma_f64 v[158:159], v[18:19], s[20:21], v[188:189]
	v_fma_f64 v[162:163], v[16:17], s[24:25], v[190:191]
	;; [unrolled: 1-line block ×3, first 2 shown]
	v_add_f64_e32 v[75:76], v[81:82], v[95:96]
	v_add_f64_e32 v[79:80], v[101:102], v[103:104]
	v_fma_f64 v[81:82], v[18:19], s[30:31], v[105:106]
	v_fma_f64 v[95:96], v[18:19], s[10:11], v[105:106]
	;; [unrolled: 1-line block ×3, first 2 shown]
	v_fma_f64 v[105:106], v[16:17], s[6:7], -v[38:39]
	v_fma_f64 v[101:102], v[16:17], s[14:15], -v[115:116]
	v_add_f64_e32 v[50:51], v[132:133], v[50:51]
	v_fma_f64 v[54:55], v[16:17], s[22:23], v[196:197]
	v_add_f64_e32 v[44:45], v[134:135], v[44:45]
	v_add_f64_e32 v[83:84], v[109:110], v[113:114]
	v_add_f64_e32 v[109:110], v[130:131], v[136:137]
	v_add_f64_e32 v[24:25], v[65:66], v[24:25]
	v_fma_f64 v[65:66], v[18:19], s[12:13], v[67:68]
	v_add_f64_e32 v[69:70], v[69:70], v[73:74]
	v_fma_f64 v[73:74], v[16:17], s[18:19], v[77:78]
	v_fma_f64 v[67:68], v[18:19], s[40:41], v[67:68]
	v_fma_f64 v[77:78], v[16:17], s[18:19], -v[77:78]
	v_add_f64_e32 v[20:21], v[20:21], v[58:59]
	v_fma_f64 v[58:59], v[18:19], s[16:17], v[192:193]
	v_add_f64_e32 v[26:27], v[26:27], v[46:47]
	v_fma_f64 v[46:47], v[16:17], s[22:23], -v[196:197]
	v_add_f64_e32 v[61:62], v[140:141], v[61:62]
	v_add_f64_e32 v[56:57], v[111:112], v[89:90]
	v_fma_f64 v[89:90], v[16:17], s[14:15], v[115:116]
	v_add_f64_e32 v[97:98], v[124:125], v[97:98]
	v_fma_f64 v[111:112], v[18:19], s[2:3], v[36:37]
	;; [unrolled: 2-line block ×3, first 2 shown]
	v_add_f64_e32 v[124:125], v[32:33], v[22:23]
	v_add_f64_e64 v[87:88], v[87:88], -v[178:179]
	v_add_f64_e32 v[128:129], v[30:31], v[0:1]
	v_add_f64_e32 v[16:17], v[28:29], v[48:49]
	;; [unrolled: 1-line block ×18, first 2 shown]
	v_mul_i32_i24_e32 v56, 0xd0, v64
	v_add_f64_e32 v[50:51], v[111:112], v[113:114]
	v_add_f64_e32 v[48:49], v[115:116], v[124:125]
	v_add_f64_e32 v[54:55], v[87:88], v[126:127]
	s_delay_alu instid0(VALU_DEP_4) | instskip(SKIP_3) | instid1(VALU_DEP_2)
	v_add3_u32 v56, 0, v56, v123
	s_wait_loadcnt 0x0
	v_add_f64_e32 v[85:86], v[2:3], v[168:169]
	v_add_f64_e32 v[2:3], v[158:159], v[91:92]
	;; [unrolled: 1-line block ×3, first 2 shown]
	ds_store_b128 v56, v[8:11]
	ds_store_b128 v56, v[12:15] offset:16
	ds_store_b128 v56, v[36:39] offset:32
	;; [unrolled: 1-line block ×12, first 2 shown]
.LBB0_14:
	s_wait_alu 0xfffe
	s_or_b32 exec_lo, exec_lo, s1
	v_lshlrev_b32_e32 v0, 4, v64
	global_wb scope:SCOPE_SE
	s_wait_storecnt_dscnt 0x0
	s_barrier_signal -1
	s_barrier_wait -1
	global_inv scope:SCOPE_SE
	v_add3_u32 v66, 0, v0, v123
	ds_load_b128 v[20:23], v117
	ds_load_b128 v[0:3], v121 offset:1248
	ds_load_b128 v[40:43], v121 offset:3536
	;; [unrolled: 1-line block ×9, first 2 shown]
	ds_load_b128 v[24:27], v66
	ds_load_b128 v[44:47], v121 offset:7696
	v_cmp_gt_u32_e64 s0, 26, v60
	s_delay_alu instid0(VALU_DEP_1)
	s_and_saveexec_b32 s1, s0
	s_cbranch_execz .LBB0_16
; %bb.15:
	ds_load_b128 v[4:7], v121 offset:2496
	ds_load_b128 v[8:11], v121 offset:5408
	;; [unrolled: 1-line block ×3, first 2 shown]
.LBB0_16:
	s_wait_alu 0xfffe
	s_or_b32 exec_lo, exec_lo, s1
	v_and_b32_e32 v61, 0xff, v60
	v_add_nc_u16 v62, v60, 0x4e
	v_and_b32_e32 v63, 0xff, v64
	v_add_nc_u16 v65, v60, 0x75
	s_mov_b32 s2, 0xe8584caa
	v_mul_lo_u16 v61, 0x4f, v61
	v_and_b32_e32 v67, 0xff, v62
	v_mul_lo_u16 v63, 0x4f, v63
	s_mov_b32 s3, 0x3febb67a
	s_mov_b32 s7, 0xbfebb67a
	v_lshrrev_b16 v113, 10, v61
	v_and_b32_e32 v61, 0xff, v65
	v_mul_lo_u16 v67, 0x4f, v67
	v_lshrrev_b16 v63, 10, v63
	s_wait_alu 0xfffe
	s_mov_b32 s6, s2
	v_mul_lo_u16 v68, v113, 13
	v_mul_lo_u16 v61, 0x4f, v61
	v_lshrrev_b16 v114, 10, v67
	v_mul_lo_u16 v67, v63, 13
	s_delay_alu instid0(VALU_DEP_4) | instskip(NEXT) | instid1(VALU_DEP_4)
	v_sub_nc_u16 v68, v60, v68
	v_lshrrev_b16 v115, 10, v61
	s_delay_alu instid0(VALU_DEP_4) | instskip(NEXT) | instid1(VALU_DEP_4)
	v_mul_lo_u16 v61, v114, 13
	v_sub_nc_u16 v67, v64, v67
	s_delay_alu instid0(VALU_DEP_4) | instskip(NEXT) | instid1(VALU_DEP_4)
	v_and_b32_e32 v116, 0xff, v68
	v_mul_lo_u16 v68, v115, 13
	s_delay_alu instid0(VALU_DEP_4) | instskip(NEXT) | instid1(VALU_DEP_4)
	v_sub_nc_u16 v61, v62, v61
	v_and_b32_e32 v124, 0xff, v67
	s_delay_alu instid0(VALU_DEP_4) | instskip(NEXT) | instid1(VALU_DEP_4)
	v_lshlrev_b32_e32 v62, 5, v116
	v_sub_nc_u16 v65, v65, v68
	s_delay_alu instid0(VALU_DEP_4) | instskip(NEXT) | instid1(VALU_DEP_4)
	v_and_b32_e32 v125, 0xff, v61
	v_lshlrev_b32_e32 v61, 5, v124
	s_clause 0x1
	global_load_b128 v[67:70], v62, s[4:5]
	global_load_b128 v[71:74], v62, s[4:5] offset:16
	v_and_b32_e32 v65, 0xff, v65
	v_lshlrev_b32_e32 v62, 5, v125
	s_clause 0x1
	global_load_b128 v[75:78], v61, s[4:5]
	global_load_b128 v[79:82], v61, s[4:5] offset:16
	v_lshlrev_b32_e32 v61, 5, v65
	v_lshlrev_b32_e32 v65, 4, v65
	s_clause 0x3
	global_load_b128 v[83:86], v62, s[4:5]
	global_load_b128 v[87:90], v62, s[4:5] offset:16
	global_load_b128 v[91:94], v61, s[4:5]
	global_load_b128 v[95:98], v61, s[4:5] offset:16
	global_wb scope:SCOPE_SE
	s_wait_loadcnt_dscnt 0x0
	s_barrier_signal -1
	s_barrier_wait -1
	global_inv scope:SCOPE_SE
	v_mul_f64_e32 v[61:62], v[54:55], v[69:70]
	v_mul_f64_e32 v[99:100], v[58:59], v[73:74]
	;; [unrolled: 1-line block ×16, first 2 shown]
	v_fma_f64 v[52:53], v[52:53], v[67:68], -v[61:62]
	v_fma_f64 v[56:57], v[56:57], v[71:72], -v[99:100]
	v_fma_f64 v[54:55], v[54:55], v[67:68], v[69:70]
	v_fma_f64 v[58:59], v[58:59], v[71:72], v[73:74]
	v_fma_f64 v[40:41], v[40:41], v[75:76], -v[101:102]
	v_fma_f64 v[48:49], v[48:49], v[79:80], -v[103:104]
	v_fma_f64 v[42:43], v[42:43], v[75:76], v[77:78]
	v_fma_f64 v[50:51], v[50:51], v[79:80], v[81:82]
	v_fma_f64 v[28:29], v[28:29], v[83:84], -v[105:106]
	v_fma_f64 v[32:33], v[32:33], v[87:88], -v[107:108]
	v_fma_f64 v[30:31], v[30:31], v[83:84], v[85:86]
	v_fma_f64 v[34:35], v[34:35], v[87:88], v[89:90]
	v_fma_f64 v[36:37], v[36:37], v[91:92], -v[109:110]
	v_fma_f64 v[44:45], v[44:45], v[95:96], -v[111:112]
	v_fma_f64 v[38:39], v[38:39], v[91:92], v[93:94]
	v_fma_f64 v[46:47], v[46:47], v[95:96], v[97:98]
	v_add_f64_e32 v[81:82], v[20:21], v[52:53]
	v_add_f64_e32 v[61:62], v[52:53], v[56:57]
	v_add_f64_e64 v[52:53], v[52:53], -v[56:57]
	v_add_f64_e32 v[67:68], v[54:55], v[58:59]
	v_add_f64_e64 v[83:84], v[54:55], -v[58:59]
	v_add_f64_e32 v[69:70], v[40:41], v[48:49]
	v_add_f64_e32 v[54:55], v[22:23], v[54:55]
	;; [unrolled: 1-line block ×11, first 2 shown]
	v_add_f64_e64 v[42:43], v[42:43], -v[50:51]
	v_add_f64_e64 v[97:98], v[40:41], -v[48:49]
	v_add_f64_e32 v[93:94], v[16:17], v[36:37]
	v_add_f64_e32 v[95:96], v[18:19], v[38:39]
	v_add_f64_e64 v[99:100], v[30:31], -v[34:35]
	v_add_f64_e64 v[101:102], v[28:29], -v[32:33]
	;; [unrolled: 1-line block ×4, first 2 shown]
	v_fma_f64 v[61:62], v[61:62], -0.5, v[20:21]
	v_fma_f64 v[67:68], v[67:68], -0.5, v[22:23]
	;; [unrolled: 1-line block ×4, first 2 shown]
	v_add_f64_e32 v[20:21], v[89:90], v[32:33]
	v_fma_f64 v[73:74], v[73:74], -0.5, v[0:1]
	v_add_f64_e32 v[0:1], v[81:82], v[56:57]
	v_fma_f64 v[75:76], v[75:76], -0.5, v[2:3]
	;; [unrolled: 2-line block ×4, first 2 shown]
	v_add_f64_e32 v[16:17], v[85:86], v[48:49]
	v_add_f64_e32 v[18:19], v[87:88], v[50:51]
	;; [unrolled: 1-line block ×4, first 2 shown]
	v_fma_f64 v[28:29], v[83:84], s[2:3], v[61:62]
	s_wait_alu 0xfffe
	v_fma_f64 v[32:33], v[83:84], s[6:7], v[61:62]
	v_fma_f64 v[30:31], v[52:53], s[6:7], v[67:68]
	;; [unrolled: 1-line block ×15, first 2 shown]
	v_and_b32_e32 v61, 0xffff, v113
	v_and_b32_e32 v62, 0xffff, v63
	;; [unrolled: 1-line block ×4, first 2 shown]
	v_lshlrev_b32_e32 v68, 4, v116
	v_mad_u32_u24 v61, 0x270, v61, 0
	v_mad_u32_u24 v62, 0x270, v62, 0
	v_lshlrev_b32_e32 v69, 4, v124
	v_mad_u32_u24 v63, 0x270, v63, 0
	v_mad_u32_u24 v67, 0x270, v67, 0
	v_add3_u32 v61, v61, v68, v123
	v_lshlrev_b32_e32 v68, 4, v125
	v_add3_u32 v62, v62, v69, v123
	s_delay_alu instid0(VALU_DEP_4) | instskip(NEXT) | instid1(VALU_DEP_3)
	v_add3_u32 v65, v67, v65, v123
	v_add3_u32 v63, v63, v68, v123
	ds_store_b128 v61, v[0:3]
	ds_store_b128 v61, v[28:31] offset:208
	ds_store_b128 v61, v[32:35] offset:416
	ds_store_b128 v62, v[16:19]
	ds_store_b128 v62, v[36:39] offset:208
	ds_store_b128 v62, v[40:43] offset:416
	ds_store_b128 v63, v[20:23]
	ds_store_b128 v63, v[44:47] offset:208
	ds_store_b128 v63, v[48:51] offset:416
	ds_store_b128 v65, v[24:27]
	ds_store_b128 v65, v[52:55] offset:208
	ds_store_b128 v65, v[56:59] offset:416
	s_and_saveexec_b32 s1, s0
	s_cbranch_execz .LBB0_18
; %bb.17:
	v_add_nc_u16 v0, v60, 0x9c
	s_delay_alu instid0(VALU_DEP_1) | instskip(NEXT) | instid1(VALU_DEP_1)
	v_and_b32_e32 v1, 0xff, v0
	v_mul_lo_u16 v1, 0x4f, v1
	s_delay_alu instid0(VALU_DEP_1) | instskip(NEXT) | instid1(VALU_DEP_1)
	v_lshrrev_b16 v24, 10, v1
	v_mul_lo_u16 v1, v24, 13
	s_delay_alu instid0(VALU_DEP_1) | instskip(NEXT) | instid1(VALU_DEP_1)
	v_sub_nc_u16 v0, v0, v1
	v_and_b32_e32 v25, 0xff, v0
	s_delay_alu instid0(VALU_DEP_1)
	v_lshlrev_b32_e32 v16, 5, v25
	s_clause 0x1
	global_load_b128 v[0:3], v16, s[4:5]
	global_load_b128 v[16:19], v16, s[4:5] offset:16
	s_wait_loadcnt 0x1
	v_mul_f64_e32 v[20:21], v[8:9], v[2:3]
	s_wait_loadcnt 0x0
	v_mul_f64_e32 v[22:23], v[12:13], v[18:19]
	v_mul_f64_e32 v[2:3], v[10:11], v[2:3]
	;; [unrolled: 1-line block ×3, first 2 shown]
	s_delay_alu instid0(VALU_DEP_4) | instskip(NEXT) | instid1(VALU_DEP_4)
	v_fma_f64 v[10:11], v[10:11], v[0:1], v[20:21]
	v_fma_f64 v[14:15], v[14:15], v[16:17], v[22:23]
	s_delay_alu instid0(VALU_DEP_4) | instskip(NEXT) | instid1(VALU_DEP_4)
	v_fma_f64 v[0:1], v[8:9], v[0:1], -v[2:3]
	v_fma_f64 v[8:9], v[12:13], v[16:17], -v[18:19]
	s_delay_alu instid0(VALU_DEP_4) | instskip(NEXT) | instid1(VALU_DEP_4)
	v_add_f64_e32 v[18:19], v[6:7], v[10:11]
	v_add_f64_e32 v[2:3], v[10:11], v[14:15]
	v_add_f64_e64 v[22:23], v[10:11], -v[14:15]
	s_delay_alu instid0(VALU_DEP_4)
	v_add_f64_e32 v[12:13], v[0:1], v[8:9]
	v_add_f64_e64 v[16:17], v[0:1], -v[8:9]
	v_add_f64_e32 v[0:1], v[4:5], v[0:1]
	v_fma_f64 v[20:21], v[2:3], -0.5, v[6:7]
	v_add_f64_e32 v[2:3], v[18:19], v[14:15]
	v_fma_f64 v[4:5], v[12:13], -0.5, v[4:5]
	v_and_b32_e32 v12, 0xffff, v24
	v_add_f64_e32 v[0:1], v[0:1], v[8:9]
	v_lshlrev_b32_e32 v13, 4, v25
	s_delay_alu instid0(VALU_DEP_3) | instskip(NEXT) | instid1(VALU_DEP_1)
	v_mad_u32_u24 v12, 0x270, v12, 0
	v_add3_u32 v12, v12, v13, v123
	v_fma_f64 v[10:11], v[16:17], s[6:7], v[20:21]
	v_fma_f64 v[6:7], v[16:17], s[2:3], v[20:21]
	;; [unrolled: 1-line block ×4, first 2 shown]
	ds_store_b128 v12, v[0:3]
	ds_store_b128 v12, v[8:11] offset:208
	ds_store_b128 v12, v[4:7] offset:416
.LBB0_18:
	s_wait_alu 0xfffe
	s_or_b32 exec_lo, exec_lo, s1
	v_mul_u32_u24_e32 v0, 6, v60
	global_wb scope:SCOPE_SE
	s_wait_dscnt 0x0
	s_barrier_signal -1
	s_barrier_wait -1
	global_inv scope:SCOPE_SE
	v_lshlrev_b32_e32 v20, 4, v0
	s_mov_b32 s0, 0x37e14327
	s_mov_b32 s6, 0xe976ee23
	;; [unrolled: 1-line block ×4, first 2 shown]
	s_clause 0x5
	global_load_b128 v[0:3], v20, s[4:5] offset:416
	global_load_b128 v[4:7], v20, s[4:5] offset:432
	;; [unrolled: 1-line block ×6, first 2 shown]
	ds_load_b128 v[24:27], v121 offset:1248
	ds_load_b128 v[28:31], v121 offset:2496
	;; [unrolled: 1-line block ×12, first 2 shown]
	s_mov_b32 s7, 0xbfe11646
	s_mov_b32 s10, 0x429ad128
	;; [unrolled: 1-line block ×9, first 2 shown]
	s_wait_alu 0xfffe
	s_mov_b32 s16, s14
	s_wait_loadcnt_dscnt 0x50b
	v_mul_f64_e32 v[61:62], v[26:27], v[2:3]
	v_mul_f64_e32 v[79:80], v[24:25], v[2:3]
	s_wait_loadcnt_dscnt 0x40a
	v_mul_f64_e32 v[81:82], v[30:31], v[6:7]
	v_mul_f64_e32 v[83:84], v[28:29], v[6:7]
	;; [unrolled: 3-line block ×4, first 2 shown]
	s_wait_dscnt 0x7
	v_mul_f64_e32 v[93:94], v[42:43], v[2:3]
	v_mul_f64_e32 v[2:3], v[40:41], v[2:3]
	s_wait_dscnt 0x6
	v_mul_f64_e32 v[95:96], v[46:47], v[6:7]
	v_mul_f64_e32 v[6:7], v[44:45], v[6:7]
	;; [unrolled: 3-line block ×4, first 2 shown]
	s_wait_loadcnt_dscnt 0x102
	v_mul_f64_e32 v[101:102], v[69:70], v[18:19]
	v_mul_f64_e32 v[103:104], v[67:68], v[18:19]
	s_wait_loadcnt_dscnt 0x0
	v_mul_f64_e32 v[105:106], v[73:74], v[22:23]
	v_mul_f64_e32 v[107:108], v[71:72], v[22:23]
	v_fma_f64 v[24:25], v[24:25], v[0:1], -v[61:62]
	v_fma_f64 v[26:27], v[26:27], v[0:1], v[79:80]
	v_fma_f64 v[28:29], v[28:29], v[4:5], -v[81:82]
	v_fma_f64 v[30:31], v[30:31], v[4:5], v[83:84]
	;; [unrolled: 2-line block ×4, first 2 shown]
	v_mul_f64_e32 v[61:62], v[77:78], v[18:19]
	v_mul_f64_e32 v[18:19], v[75:76], v[18:19]
	;; [unrolled: 1-line block ×4, first 2 shown]
	v_fma_f64 v[40:41], v[40:41], v[0:1], -v[93:94]
	v_fma_f64 v[0:1], v[42:43], v[0:1], v[2:3]
	v_fma_f64 v[2:3], v[44:45], v[4:5], -v[95:96]
	v_fma_f64 v[4:5], v[46:47], v[4:5], v[6:7]
	;; [unrolled: 2-line block ×6, first 2 shown]
	v_add_f64_e32 v[48:49], v[24:25], v[32:33]
	v_add_f64_e32 v[50:51], v[26:27], v[34:35]
	;; [unrolled: 1-line block ×4, first 2 shown]
	v_fma_f64 v[61:62], v[75:76], v[16:17], -v[61:62]
	v_fma_f64 v[16:17], v[77:78], v[16:17], v[18:19]
	v_fma_f64 v[18:19], v[56:57], v[20:21], -v[79:80]
	v_fma_f64 v[20:21], v[58:59], v[20:21], v[22:23]
	v_add_f64_e64 v[28:29], v[28:29], -v[36:37]
	v_add_f64_e64 v[30:31], v[30:31], -v[38:39]
	;; [unrolled: 1-line block ×4, first 2 shown]
	v_add_f64_e32 v[22:23], v[40:41], v[6:7]
	v_add_f64_e32 v[56:57], v[0:1], v[8:9]
	;; [unrolled: 1-line block ×4, first 2 shown]
	v_add_f64_e64 v[10:11], v[2:3], -v[10:11]
	v_add_f64_e64 v[12:13], v[4:5], -v[12:13]
	v_add_f64_e32 v[69:70], v[14:15], v[44:45]
	v_add_f64_e32 v[71:72], v[42:43], v[46:47]
	v_add_f64_e64 v[14:15], v[44:45], -v[14:15]
	v_add_f64_e64 v[36:37], v[46:47], -v[42:43]
	;; [unrolled: 1-line block ×3, first 2 shown]
	v_add_f64_e32 v[32:33], v[52:53], v[48:49]
	v_add_f64_e32 v[34:35], v[54:55], v[50:51]
	;; [unrolled: 1-line block ×4, first 2 shown]
	v_add_f64_e64 v[18:19], v[18:19], -v[61:62]
	v_add_f64_e64 v[16:17], v[20:21], -v[16:17]
	;; [unrolled: 1-line block ×5, first 2 shown]
	ds_load_b128 v[0:3], v117
	ds_load_b128 v[4:7], v66
	v_add_f64_e32 v[40:41], v[58:59], v[22:23]
	v_add_f64_e32 v[44:45], v[67:68], v[56:57]
	global_wb scope:SCOPE_SE
	s_wait_dscnt 0x0
	s_barrier_signal -1
	v_add_f64_e64 v[46:47], v[48:49], -v[69:70]
	v_add_f64_e64 v[61:62], v[50:51], -v[71:72]
	;; [unrolled: 1-line block ×7, first 2 shown]
	v_add_f64_e32 v[28:29], v[14:15], v[28:29]
	v_add_f64_e32 v[30:31], v[36:37], v[30:31]
	v_add_f64_e64 v[14:15], v[24:25], -v[14:15]
	v_add_f64_e64 v[36:37], v[26:27], -v[36:37]
	;; [unrolled: 1-line block ×4, first 2 shown]
	s_barrier_wait -1
	global_inv scope:SCOPE_SE
	v_add_f64_e32 v[32:33], v[69:70], v[32:33]
	v_add_f64_e32 v[34:35], v[71:72], v[34:35]
	v_add_f64_e64 v[69:70], v[22:23], -v[38:39]
	v_add_f64_e64 v[71:72], v[56:57], -v[42:43]
	;; [unrolled: 1-line block ×5, first 2 shown]
	v_add_f64_e32 v[52:53], v[18:19], v[10:11]
	v_mul_f64_e32 v[97:98], s[10:11], v[81:82]
	v_mul_f64_e32 v[99:100], s[10:11], v[83:84]
	v_add_f64_e32 v[40:41], v[38:39], v[40:41]
	v_add_f64_e32 v[44:45], v[42:43], v[44:45]
	v_add_f64_e64 v[38:39], v[38:39], -v[58:59]
	v_add_f64_e64 v[42:43], v[42:43], -v[67:68]
	v_mul_f64_e32 v[46:47], s[0:1], v[46:47]
	v_mul_f64_e32 v[61:62], s[0:1], v[61:62]
	;; [unrolled: 1-line block ×5, first 2 shown]
	v_add_f64_e32 v[54:55], v[16:17], v[12:13]
	v_mul_f64_e32 v[95:96], s[2:3], v[75:76]
	v_add_f64_e64 v[18:19], v[20:21], -v[18:19]
	v_add_f64_e64 v[16:17], v[8:9], -v[16:17]
	v_mul_f64_e32 v[103:104], s[10:11], v[91:92]
	v_add_f64_e32 v[24:25], v[28:29], v[24:25]
	v_add_f64_e32 v[26:27], v[30:31], v[26:27]
	;; [unrolled: 1-line block ×4, first 2 shown]
	v_mul_f64_e32 v[69:70], s[0:1], v[69:70]
	v_mul_f64_e32 v[71:72], s[0:1], v[71:72]
	;; [unrolled: 1-line block ×5, first 2 shown]
	s_mov_b32 s0, 0x5476071b
	s_mov_b32 s1, 0x3fe77f67
	;; [unrolled: 1-line block ×3, first 2 shown]
	v_add_f64_e32 v[10:11], v[4:5], v[40:41]
	v_add_f64_e32 v[12:13], v[6:7], v[44:45]
	v_add_f64_e64 v[4:5], v[58:59], -v[22:23]
	v_add_f64_e64 v[6:7], v[67:68], -v[56:57]
	v_mul_f64_e32 v[22:23], s[2:3], v[38:39]
	v_mul_f64_e32 v[56:57], s[2:3], v[42:43]
	s_wait_alu 0xfffe
	s_mov_b32 s6, s0
	v_fma_f64 v[28:29], v[73:74], s[2:3], v[46:47]
	v_fma_f64 v[30:31], v[75:76], s[2:3], v[61:62]
	;; [unrolled: 1-line block ×4, first 2 shown]
	v_add_f64_e32 v[20:21], v[52:53], v[20:21]
	v_fma_f64 v[52:53], v[48:49], s[0:1], -v[93:94]
	v_fma_f64 v[73:74], v[81:82], s[10:11], -v[77:78]
	;; [unrolled: 1-line block ×5, first 2 shown]
	s_wait_alu 0xfffe
	v_fma_f64 v[46:47], v[48:49], s[6:7], -v[46:47]
	v_fma_f64 v[48:49], v[50:51], s[6:7], -v[61:62]
	v_add_f64_e32 v[8:9], v[54:55], v[8:9]
	v_fma_f64 v[54:55], v[50:51], s[0:1], -v[95:96]
	v_fma_f64 v[32:33], v[32:33], s[12:13], v[0:1]
	v_fma_f64 v[34:35], v[34:35], s[12:13], v[2:3]
	;; [unrolled: 1-line block ×6, first 2 shown]
	v_fma_f64 v[79:80], v[91:92], s[10:11], -v[87:88]
	v_fma_f64 v[77:78], v[89:90], s[10:11], -v[85:86]
	;; [unrolled: 1-line block ×4, first 2 shown]
	v_fma_f64 v[40:41], v[40:41], s[12:13], v[10:11]
	v_fma_f64 v[44:45], v[44:45], s[12:13], v[12:13]
	v_fma_f64 v[69:70], v[4:5], s[6:7], -v[69:70]
	v_fma_f64 v[71:72], v[6:7], s[6:7], -v[71:72]
	;; [unrolled: 1-line block ×4, first 2 shown]
	s_mov_b32 s0, 0x37c3f68c
	s_mov_b32 s1, 0x3fdc38aa
	s_wait_alu 0xfffe
	v_fma_f64 v[56:57], v[24:25], s[0:1], v[58:59]
	v_fma_f64 v[58:59], v[26:27], s[0:1], v[67:68]
	;; [unrolled: 1-line block ×6, first 2 shown]
	v_add_f64_e32 v[81:82], v[28:29], v[32:33]
	v_add_f64_e32 v[83:84], v[30:31], v[34:35]
	;; [unrolled: 1-line block ×6, first 2 shown]
	v_fma_f64 v[85:86], v[20:21], s[0:1], v[50:51]
	v_fma_f64 v[61:62], v[8:9], s[0:1], v[61:62]
	;; [unrolled: 1-line block ×6, first 2 shown]
	v_add_f64_e32 v[79:80], v[38:39], v[40:41]
	v_add_f64_e32 v[87:88], v[42:43], v[44:45]
	;; [unrolled: 1-line block ×7, first 2 shown]
	v_add_f64_e64 v[16:17], v[83:84], -v[56:57]
	v_add_f64_e32 v[18:19], v[36:37], v[30:31]
	v_add_f64_e64 v[20:21], v[46:47], -v[75:76]
	v_add_f64_e64 v[22:23], v[26:27], -v[73:74]
	v_add_f64_e32 v[24:25], v[67:68], v[28:29]
	v_add_f64_e32 v[26:27], v[73:74], v[26:27]
	v_add_f64_e64 v[28:29], v[28:29], -v[67:68]
	v_add_f64_e64 v[30:31], v[30:31], -v[36:37]
	v_add_f64_e32 v[32:33], v[75:76], v[46:47]
	v_add_f64_e64 v[34:35], v[81:82], -v[58:59]
	v_add_f64_e32 v[36:37], v[56:57], v[83:84]
	v_add_f64_e32 v[38:39], v[61:62], v[79:80]
	v_add_f64_e64 v[40:41], v[87:88], -v[85:86]
	v_add_f64_e32 v[42:43], v[8:9], v[54:55]
	v_add_f64_e64 v[44:45], v[69:70], -v[77:78]
	v_add_f64_e64 v[46:47], v[4:5], -v[50:51]
	v_add_f64_e32 v[48:49], v[52:53], v[6:7]
	v_add_f64_e32 v[50:51], v[50:51], v[4:5]
	v_add_f64_e64 v[52:53], v[6:7], -v[52:53]
	v_add_f64_e64 v[54:55], v[54:55], -v[8:9]
	v_add_f64_e32 v[56:57], v[77:78], v[69:70]
	v_add_f64_e64 v[67:68], v[79:80], -v[61:62]
	v_add_f64_e32 v[69:70], v[85:86], v[87:88]
	v_mov_b32_e32 v61, 0
	ds_store_b128 v121, v[0:3]
	ds_store_b128 v121, v[14:17] offset:624
	ds_store_b128 v121, v[18:21] offset:1248
	;; [unrolled: 1-line block ×13, first 2 shown]
	v_mov_b32_e32 v65, v61
	v_lshlrev_b64_e32 v[4:5], 4, v[60:61]
	global_wb scope:SCOPE_SE
	s_wait_dscnt 0x0
	s_barrier_signal -1
	s_barrier_wait -1
	v_lshlrev_b64_e32 v[6:7], 4, v[64:65]
	global_inv scope:SCOPE_SE
	v_add_co_u32 v8, s0, s4, v4
	s_wait_alu 0xf1ff
	v_add_co_ci_u32_e64 v9, s0, s5, v5, s0
	v_add_co_u32 v6, s0, s4, v6
	s_wait_alu 0xf1ff
	v_add_co_ci_u32_e64 v7, s0, s5, v7, s0
	s_clause 0x6
	global_load_b128 v[0:3], v[8:9], off offset:4160
	global_load_b128 v[10:13], v[6:7], off offset:4160
	;; [unrolled: 1-line block ×7, first 2 shown]
	ds_load_b128 v[34:37], v121 offset:4368
	ds_load_b128 v[38:41], v121 offset:4992
	;; [unrolled: 1-line block ×7, first 2 shown]
	v_cmp_ne_u32_e64 s0, 0, v60
	s_wait_loadcnt_dscnt 0x606
	v_mul_f64_e32 v[58:59], v[36:37], v[2:3]
	v_mul_f64_e32 v[2:3], v[34:35], v[2:3]
	s_wait_loadcnt_dscnt 0x505
	v_mul_f64_e32 v[61:62], v[40:41], v[12:13]
	v_mul_f64_e32 v[12:13], v[38:39], v[12:13]
	;; [unrolled: 3-line block ×7, first 2 shown]
	v_fma_f64 v[34:35], v[34:35], v[0:1], -v[58:59]
	v_fma_f64 v[36:37], v[36:37], v[0:1], v[2:3]
	v_fma_f64 v[38:39], v[38:39], v[10:11], -v[61:62]
	v_fma_f64 v[40:41], v[40:41], v[10:11], v[12:13]
	;; [unrolled: 2-line block ×7, first 2 shown]
	ds_load_b128 v[0:3], v117
	ds_load_b128 v[10:13], v66
	ds_load_b128 v[14:17], v121 offset:1248
	ds_load_b128 v[18:21], v121 offset:1872
	;; [unrolled: 1-line block ×5, first 2 shown]
	global_wb scope:SCOPE_SE
	s_wait_dscnt 0x0
	s_barrier_signal -1
	s_barrier_wait -1
	global_inv scope:SCOPE_SE
	v_add_f64_e64 v[34:35], v[0:1], -v[34:35]
	v_add_f64_e64 v[36:37], v[2:3], -v[36:37]
	;; [unrolled: 1-line block ×14, first 2 shown]
	v_lshl_add_u32 v58, v119, 4, v120
	v_fma_f64 v[0:1], v[0:1], 2.0, -v[34:35]
	v_fma_f64 v[2:3], v[2:3], 2.0, -v[36:37]
	;; [unrolled: 1-line block ×14, first 2 shown]
	ds_store_b128 v121, v[0:3]
	ds_store_b128 v121, v[34:37] offset:4368
	ds_store_b128 v66, v[10:13]
	ds_store_b128 v66, v[38:41] offset:4368
	ds_store_b128 v121, v[14:17] offset:1248
	;; [unrolled: 1-line block ×11, first 2 shown]
	global_wb scope:SCOPE_SE
	s_wait_dscnt 0x0
	s_barrier_signal -1
	s_barrier_wait -1
	global_inv scope:SCOPE_SE
	ds_load_b128 v[0:3], v117
	v_sub_nc_u32_e32 v14, v118, v122
                                        ; implicit-def: $vgpr12_vgpr13
                                        ; implicit-def: $vgpr10_vgpr11
	s_and_saveexec_b32 s1, s0
	s_wait_alu 0xfffe
	s_xor_b32 s0, exec_lo, s1
	s_cbranch_execz .LBB0_20
; %bb.19:
	global_load_b128 v[8:11], v[8:9], off offset:8528
	ds_load_b128 v[15:18], v14 offset:8736
	s_wait_dscnt 0x0
	v_add_f64_e64 v[12:13], v[0:1], -v[15:16]
	v_add_f64_e32 v[19:20], v[2:3], v[17:18]
	v_add_f64_e64 v[2:3], v[2:3], -v[17:18]
	v_add_f64_e32 v[0:1], v[0:1], v[15:16]
	s_delay_alu instid0(VALU_DEP_4) | instskip(NEXT) | instid1(VALU_DEP_4)
	v_mul_f64_e32 v[12:13], 0.5, v[12:13]
	v_mul_f64_e32 v[17:18], 0.5, v[19:20]
	s_delay_alu instid0(VALU_DEP_4) | instskip(SKIP_1) | instid1(VALU_DEP_3)
	v_mul_f64_e32 v[2:3], 0.5, v[2:3]
	s_wait_loadcnt 0x0
	v_mul_f64_e32 v[15:16], v[12:13], v[10:11]
	s_delay_alu instid0(VALU_DEP_2) | instskip(SKIP_1) | instid1(VALU_DEP_3)
	v_fma_f64 v[19:20], v[17:18], v[10:11], v[2:3]
	v_fma_f64 v[2:3], v[17:18], v[10:11], -v[2:3]
	v_fma_f64 v[10:11], v[0:1], 0.5, v[15:16]
	v_fma_f64 v[0:1], v[0:1], 0.5, -v[15:16]
	s_delay_alu instid0(VALU_DEP_4) | instskip(NEXT) | instid1(VALU_DEP_4)
	v_fma_f64 v[15:16], -v[8:9], v[12:13], v[19:20]
	v_fma_f64 v[2:3], -v[8:9], v[12:13], v[2:3]
	ds_store_b64 v117, v[15:16] offset:8
	ds_store_b64 v14, v[2:3] offset:8744
	v_fma_f64 v[10:11], v[17:18], v[8:9], v[10:11]
	v_fma_f64 v[12:13], -v[17:18], v[8:9], v[0:1]
                                        ; implicit-def: $vgpr0_vgpr1
.LBB0_20:
	s_wait_alu 0xfffe
	s_and_not1_saveexec_b32 s0, s0
	s_cbranch_execz .LBB0_22
; %bb.21:
	s_wait_dscnt 0x0
	v_add_f64_e32 v[10:11], v[0:1], v[2:3]
	v_add_f64_e64 v[12:13], v[0:1], -v[2:3]
	s_mov_b32 s2, 0
	s_wait_alu 0xfffe
	s_mov_b32 s3, s2
	s_wait_alu 0xfffe
	v_dual_mov_b32 v0, s2 :: v_dual_mov_b32 v1, s3
	ds_store_b64 v117, v[0:1] offset:8
	ds_store_b64 v14, v[0:1] offset:8744
	ds_load_b64 v[0:1], v118 offset:4376
	s_wait_dscnt 0x0
	v_xor_b32_e32 v1, 0x80000000, v1
	ds_store_b64 v118, v[0:1] offset:4376
.LBB0_22:
	s_wait_alu 0xfffe
	s_or_b32 exec_lo, exec_lo, s0
	s_wait_dscnt 0x0
	global_load_b128 v[0:3], v[6:7], off offset:8528
	s_add_nc_u64 s[0:1], s[4:5], 0x2150
	v_lshl_add_u32 v25, v64, 4, v118
	s_wait_alu 0xfffe
	v_add_co_u32 v19, s0, s0, v4
	s_wait_alu 0xf1ff
	v_add_co_ci_u32_e64 v20, s0, s1, v5, s0
	global_load_b128 v[6:9], v[19:20], off offset:1248
	ds_store_b64 v117, v[10:11]
	ds_store_b64 v14, v[12:13] offset:8736
	ds_load_b128 v[10:13], v25
	ds_load_b128 v[15:18], v14 offset:8112
	s_wait_dscnt 0x0
	v_add_f64_e64 v[21:22], v[10:11], -v[15:16]
	v_add_f64_e32 v[23:24], v[12:13], v[17:18]
	v_add_f64_e64 v[12:13], v[12:13], -v[17:18]
	v_add_f64_e32 v[10:11], v[10:11], v[15:16]
	s_delay_alu instid0(VALU_DEP_4) | instskip(NEXT) | instid1(VALU_DEP_4)
	v_mul_f64_e32 v[17:18], 0.5, v[21:22]
	v_mul_f64_e32 v[21:22], 0.5, v[23:24]
	s_delay_alu instid0(VALU_DEP_4) | instskip(SKIP_1) | instid1(VALU_DEP_3)
	v_mul_f64_e32 v[12:13], 0.5, v[12:13]
	s_wait_loadcnt 0x1
	v_mul_f64_e32 v[15:16], v[17:18], v[2:3]
	s_delay_alu instid0(VALU_DEP_2) | instskip(SKIP_1) | instid1(VALU_DEP_3)
	v_fma_f64 v[23:24], v[21:22], v[2:3], v[12:13]
	v_fma_f64 v[2:3], v[21:22], v[2:3], -v[12:13]
	v_fma_f64 v[12:13], v[10:11], 0.5, v[15:16]
	v_fma_f64 v[10:11], v[10:11], 0.5, -v[15:16]
	s_delay_alu instid0(VALU_DEP_4) | instskip(NEXT) | instid1(VALU_DEP_4)
	v_fma_f64 v[15:16], -v[0:1], v[17:18], v[23:24]
	v_fma_f64 v[2:3], -v[0:1], v[17:18], v[2:3]
	s_delay_alu instid0(VALU_DEP_4) | instskip(NEXT) | instid1(VALU_DEP_4)
	v_fma_f64 v[17:18], v[21:22], v[0:1], v[12:13]
	v_fma_f64 v[0:1], -v[21:22], v[0:1], v[10:11]
	global_load_b128 v[10:13], v[19:20], off offset:1872
	ds_store_2addr_b64 v25, v[17:18], v[15:16] offset1:1
	ds_store_b128 v14, v[0:3] offset:8112
	ds_load_b128 v[0:3], v117 offset:1248
	ds_load_b128 v[15:18], v14 offset:7488
	s_wait_dscnt 0x0
	v_add_f64_e64 v[21:22], v[0:1], -v[15:16]
	v_add_f64_e32 v[23:24], v[2:3], v[17:18]
	v_add_f64_e64 v[2:3], v[2:3], -v[17:18]
	v_add_f64_e32 v[0:1], v[0:1], v[15:16]
	s_delay_alu instid0(VALU_DEP_4) | instskip(NEXT) | instid1(VALU_DEP_4)
	v_mul_f64_e32 v[17:18], 0.5, v[21:22]
	v_mul_f64_e32 v[21:22], 0.5, v[23:24]
	s_delay_alu instid0(VALU_DEP_4) | instskip(SKIP_1) | instid1(VALU_DEP_3)
	v_mul_f64_e32 v[2:3], 0.5, v[2:3]
	s_wait_loadcnt 0x1
	v_mul_f64_e32 v[15:16], v[17:18], v[8:9]
	s_delay_alu instid0(VALU_DEP_2) | instskip(SKIP_1) | instid1(VALU_DEP_3)
	v_fma_f64 v[23:24], v[21:22], v[8:9], v[2:3]
	v_fma_f64 v[2:3], v[21:22], v[8:9], -v[2:3]
	v_fma_f64 v[8:9], v[0:1], 0.5, v[15:16]
	v_fma_f64 v[0:1], v[0:1], 0.5, -v[15:16]
	s_delay_alu instid0(VALU_DEP_4) | instskip(NEXT) | instid1(VALU_DEP_4)
	v_fma_f64 v[15:16], -v[6:7], v[17:18], v[23:24]
	v_fma_f64 v[2:3], -v[6:7], v[17:18], v[2:3]
	s_delay_alu instid0(VALU_DEP_4) | instskip(NEXT) | instid1(VALU_DEP_4)
	v_fma_f64 v[17:18], v[21:22], v[6:7], v[8:9]
	v_fma_f64 v[0:1], -v[21:22], v[6:7], v[0:1]
	global_load_b128 v[6:9], v[19:20], off offset:2496
	ds_store_2addr_b64 v117, v[17:18], v[15:16] offset0:156 offset1:157
	ds_store_b128 v14, v[0:3] offset:7488
	ds_load_b128 v[0:3], v117 offset:1872
	ds_load_b128 v[15:18], v14 offset:6864
	s_wait_dscnt 0x0
	v_add_f64_e64 v[21:22], v[0:1], -v[15:16]
	v_add_f64_e32 v[23:24], v[2:3], v[17:18]
	v_add_f64_e64 v[2:3], v[2:3], -v[17:18]
	v_add_f64_e32 v[0:1], v[0:1], v[15:16]
	s_delay_alu instid0(VALU_DEP_4) | instskip(NEXT) | instid1(VALU_DEP_4)
	v_mul_f64_e32 v[17:18], 0.5, v[21:22]
	v_mul_f64_e32 v[21:22], 0.5, v[23:24]
	s_delay_alu instid0(VALU_DEP_4) | instskip(SKIP_1) | instid1(VALU_DEP_3)
	v_mul_f64_e32 v[2:3], 0.5, v[2:3]
	s_wait_loadcnt 0x1
	v_mul_f64_e32 v[15:16], v[17:18], v[12:13]
	s_delay_alu instid0(VALU_DEP_2) | instskip(SKIP_1) | instid1(VALU_DEP_3)
	v_fma_f64 v[23:24], v[21:22], v[12:13], v[2:3]
	v_fma_f64 v[2:3], v[21:22], v[12:13], -v[2:3]
	v_fma_f64 v[12:13], v[0:1], 0.5, v[15:16]
	v_fma_f64 v[0:1], v[0:1], 0.5, -v[15:16]
	s_delay_alu instid0(VALU_DEP_4) | instskip(NEXT) | instid1(VALU_DEP_4)
	v_fma_f64 v[15:16], -v[10:11], v[17:18], v[23:24]
	v_fma_f64 v[2:3], -v[10:11], v[17:18], v[2:3]
	s_delay_alu instid0(VALU_DEP_4) | instskip(NEXT) | instid1(VALU_DEP_4)
	v_fma_f64 v[17:18], v[21:22], v[10:11], v[12:13]
	v_fma_f64 v[0:1], -v[21:22], v[10:11], v[0:1]
	global_load_b128 v[10:13], v[19:20], off offset:3120
	ds_store_2addr_b64 v117, v[17:18], v[15:16] offset0:234 offset1:235
	ds_store_b128 v14, v[0:3] offset:6864
	ds_load_b128 v[0:3], v117 offset:2496
	ds_load_b128 v[15:18], v14 offset:6240
	s_wait_dscnt 0x0
	v_add_f64_e64 v[21:22], v[0:1], -v[15:16]
	v_add_f64_e32 v[23:24], v[2:3], v[17:18]
	v_add_f64_e64 v[2:3], v[2:3], -v[17:18]
	v_add_f64_e32 v[0:1], v[0:1], v[15:16]
	s_delay_alu instid0(VALU_DEP_4) | instskip(NEXT) | instid1(VALU_DEP_4)
	v_mul_f64_e32 v[17:18], 0.5, v[21:22]
	v_mul_f64_e32 v[21:22], 0.5, v[23:24]
	s_delay_alu instid0(VALU_DEP_4) | instskip(SKIP_1) | instid1(VALU_DEP_3)
	v_mul_f64_e32 v[2:3], 0.5, v[2:3]
	s_wait_loadcnt 0x1
	v_mul_f64_e32 v[15:16], v[17:18], v[8:9]
	s_delay_alu instid0(VALU_DEP_2) | instskip(SKIP_1) | instid1(VALU_DEP_3)
	v_fma_f64 v[23:24], v[21:22], v[8:9], v[2:3]
	v_fma_f64 v[2:3], v[21:22], v[8:9], -v[2:3]
	v_fma_f64 v[8:9], v[0:1], 0.5, v[15:16]
	v_fma_f64 v[0:1], v[0:1], 0.5, -v[15:16]
	s_delay_alu instid0(VALU_DEP_4) | instskip(NEXT) | instid1(VALU_DEP_4)
	v_fma_f64 v[15:16], -v[6:7], v[17:18], v[23:24]
	v_fma_f64 v[2:3], -v[6:7], v[17:18], v[2:3]
	v_add_nc_u32_e32 v23, 0x800, v117
	v_fma_f64 v[17:18], v[21:22], v[6:7], v[8:9]
	v_fma_f64 v[0:1], -v[21:22], v[6:7], v[0:1]
	global_load_b128 v[6:9], v[19:20], off offset:3744
	ds_store_2addr_b64 v23, v[17:18], v[15:16] offset0:56 offset1:57
	ds_store_b128 v14, v[0:3] offset:6240
	ds_load_b128 v[0:3], v117 offset:3120
	ds_load_b128 v[15:18], v14 offset:5616
	s_wait_dscnt 0x0
	v_add_f64_e64 v[19:20], v[0:1], -v[15:16]
	v_add_f64_e32 v[21:22], v[2:3], v[17:18]
	v_add_f64_e64 v[2:3], v[2:3], -v[17:18]
	v_add_f64_e32 v[0:1], v[0:1], v[15:16]
	s_delay_alu instid0(VALU_DEP_4) | instskip(NEXT) | instid1(VALU_DEP_4)
	v_mul_f64_e32 v[17:18], 0.5, v[19:20]
	v_mul_f64_e32 v[19:20], 0.5, v[21:22]
	s_delay_alu instid0(VALU_DEP_4) | instskip(SKIP_1) | instid1(VALU_DEP_3)
	v_mul_f64_e32 v[2:3], 0.5, v[2:3]
	s_wait_loadcnt 0x1
	v_mul_f64_e32 v[15:16], v[17:18], v[12:13]
	s_delay_alu instid0(VALU_DEP_2) | instskip(SKIP_1) | instid1(VALU_DEP_3)
	v_fma_f64 v[21:22], v[19:20], v[12:13], v[2:3]
	v_fma_f64 v[2:3], v[19:20], v[12:13], -v[2:3]
	v_fma_f64 v[12:13], v[0:1], 0.5, v[15:16]
	v_fma_f64 v[0:1], v[0:1], 0.5, -v[15:16]
	s_delay_alu instid0(VALU_DEP_4) | instskip(NEXT) | instid1(VALU_DEP_4)
	v_fma_f64 v[15:16], -v[10:11], v[17:18], v[21:22]
	v_fma_f64 v[2:3], -v[10:11], v[17:18], v[2:3]
	s_delay_alu instid0(VALU_DEP_4) | instskip(NEXT) | instid1(VALU_DEP_4)
	v_fma_f64 v[12:13], v[19:20], v[10:11], v[12:13]
	v_fma_f64 v[0:1], -v[19:20], v[10:11], v[0:1]
	ds_store_2addr_b64 v23, v[12:13], v[15:16] offset0:134 offset1:135
	ds_store_b128 v14, v[0:3] offset:5616
	ds_load_b128 v[0:3], v117 offset:3744
	ds_load_b128 v[10:13], v14 offset:4992
	s_wait_dscnt 0x0
	v_add_f64_e64 v[15:16], v[0:1], -v[10:11]
	v_add_f64_e32 v[17:18], v[2:3], v[12:13]
	v_add_f64_e64 v[2:3], v[2:3], -v[12:13]
	v_add_f64_e32 v[0:1], v[0:1], v[10:11]
	s_delay_alu instid0(VALU_DEP_4) | instskip(NEXT) | instid1(VALU_DEP_4)
	v_mul_f64_e32 v[12:13], 0.5, v[15:16]
	v_mul_f64_e32 v[15:16], 0.5, v[17:18]
	s_delay_alu instid0(VALU_DEP_4) | instskip(SKIP_1) | instid1(VALU_DEP_3)
	v_mul_f64_e32 v[2:3], 0.5, v[2:3]
	s_wait_loadcnt 0x0
	v_mul_f64_e32 v[10:11], v[12:13], v[8:9]
	s_delay_alu instid0(VALU_DEP_2) | instskip(SKIP_1) | instid1(VALU_DEP_3)
	v_fma_f64 v[17:18], v[15:16], v[8:9], v[2:3]
	v_fma_f64 v[2:3], v[15:16], v[8:9], -v[2:3]
	v_fma_f64 v[8:9], v[0:1], 0.5, v[10:11]
	v_fma_f64 v[0:1], v[0:1], 0.5, -v[10:11]
	s_delay_alu instid0(VALU_DEP_4) | instskip(NEXT) | instid1(VALU_DEP_4)
	v_fma_f64 v[10:11], -v[6:7], v[12:13], v[17:18]
	v_fma_f64 v[2:3], -v[6:7], v[12:13], v[2:3]
	s_delay_alu instid0(VALU_DEP_4) | instskip(NEXT) | instid1(VALU_DEP_4)
	v_fma_f64 v[8:9], v[15:16], v[6:7], v[8:9]
	v_fma_f64 v[0:1], -v[15:16], v[6:7], v[0:1]
	ds_store_2addr_b64 v23, v[8:9], v[10:11] offset0:212 offset1:213
	ds_store_b128 v14, v[0:3] offset:4992
	global_wb scope:SCOPE_SE
	s_wait_dscnt 0x0
	s_barrier_signal -1
	s_barrier_wait -1
	global_inv scope:SCOPE_SE
	s_and_saveexec_b32 s0, vcc_lo
	s_cbranch_execz .LBB0_25
; %bb.23:
	ds_load_b128 v[6:9], v117
	ds_load_b128 v[10:13], v117 offset:624
	ds_load_b128 v[14:17], v117 offset:1248
	;; [unrolled: 1-line block ×13, first 2 shown]
	v_add_co_u32 v0, vcc_lo, s8, v254
	s_wait_alu 0xfffd
	v_add_co_ci_u32_e32 v1, vcc_lo, s9, v255, vcc_lo
	s_delay_alu instid0(VALU_DEP_2) | instskip(SKIP_1) | instid1(VALU_DEP_2)
	v_add_co_u32 v2, vcc_lo, v0, v4
	s_wait_alu 0xfffd
	v_add_co_ci_u32_e32 v3, vcc_lo, v1, v5, vcc_lo
	v_cmp_eq_u32_e32 vcc_lo, 38, v60
	s_wait_dscnt 0xd
	global_store_b128 v[2:3], v[6:9], off
	s_wait_dscnt 0xc
	global_store_b128 v[2:3], v[10:13], off offset:624
	s_wait_dscnt 0xb
	global_store_b128 v[2:3], v[14:17], off offset:1248
	;; [unrolled: 2-line block ×13, first 2 shown]
	s_and_b32 exec_lo, exec_lo, vcc_lo
	s_cbranch_execz .LBB0_25
; %bb.24:
	ds_load_b128 v[2:5], v117 offset:8128
	s_wait_dscnt 0x0
	global_store_b128 v[0:1], v[2:5], off offset:8736
.LBB0_25:
	s_nop 0
	s_sendmsg sendmsg(MSG_DEALLOC_VGPRS)
	s_endpgm
	.section	.rodata,"a",@progbits
	.p2align	6, 0x0
	.amdhsa_kernel fft_rtc_fwd_len546_factors_13_3_7_2_wgs_117_tpt_39_halfLds_dp_ip_CI_unitstride_sbrr_R2C_dirReg
		.amdhsa_group_segment_fixed_size 0
		.amdhsa_private_segment_fixed_size 12
		.amdhsa_kernarg_size 88
		.amdhsa_user_sgpr_count 2
		.amdhsa_user_sgpr_dispatch_ptr 0
		.amdhsa_user_sgpr_queue_ptr 0
		.amdhsa_user_sgpr_kernarg_segment_ptr 1
		.amdhsa_user_sgpr_dispatch_id 0
		.amdhsa_user_sgpr_private_segment_size 0
		.amdhsa_wavefront_size32 1
		.amdhsa_uses_dynamic_stack 0
		.amdhsa_enable_private_segment 1
		.amdhsa_system_sgpr_workgroup_id_x 1
		.amdhsa_system_sgpr_workgroup_id_y 0
		.amdhsa_system_sgpr_workgroup_id_z 0
		.amdhsa_system_sgpr_workgroup_info 0
		.amdhsa_system_vgpr_workitem_id 0
		.amdhsa_next_free_vgpr 256
		.amdhsa_next_free_sgpr 44
		.amdhsa_reserve_vcc 1
		.amdhsa_float_round_mode_32 0
		.amdhsa_float_round_mode_16_64 0
		.amdhsa_float_denorm_mode_32 3
		.amdhsa_float_denorm_mode_16_64 3
		.amdhsa_fp16_overflow 0
		.amdhsa_workgroup_processor_mode 1
		.amdhsa_memory_ordered 1
		.amdhsa_forward_progress 0
		.amdhsa_round_robin_scheduling 0
		.amdhsa_exception_fp_ieee_invalid_op 0
		.amdhsa_exception_fp_denorm_src 0
		.amdhsa_exception_fp_ieee_div_zero 0
		.amdhsa_exception_fp_ieee_overflow 0
		.amdhsa_exception_fp_ieee_underflow 0
		.amdhsa_exception_fp_ieee_inexact 0
		.amdhsa_exception_int_div_zero 0
	.end_amdhsa_kernel
	.text
.Lfunc_end0:
	.size	fft_rtc_fwd_len546_factors_13_3_7_2_wgs_117_tpt_39_halfLds_dp_ip_CI_unitstride_sbrr_R2C_dirReg, .Lfunc_end0-fft_rtc_fwd_len546_factors_13_3_7_2_wgs_117_tpt_39_halfLds_dp_ip_CI_unitstride_sbrr_R2C_dirReg
                                        ; -- End function
	.section	.AMDGPU.csdata,"",@progbits
; Kernel info:
; codeLenInByte = 13728
; NumSgprs: 46
; NumVgprs: 256
; ScratchSize: 12
; MemoryBound: 0
; FloatMode: 240
; IeeeMode: 1
; LDSByteSize: 0 bytes/workgroup (compile time only)
; SGPRBlocks: 5
; VGPRBlocks: 31
; NumSGPRsForWavesPerEU: 46
; NumVGPRsForWavesPerEU: 256
; Occupancy: 5
; WaveLimiterHint : 1
; COMPUTE_PGM_RSRC2:SCRATCH_EN: 1
; COMPUTE_PGM_RSRC2:USER_SGPR: 2
; COMPUTE_PGM_RSRC2:TRAP_HANDLER: 0
; COMPUTE_PGM_RSRC2:TGID_X_EN: 1
; COMPUTE_PGM_RSRC2:TGID_Y_EN: 0
; COMPUTE_PGM_RSRC2:TGID_Z_EN: 0
; COMPUTE_PGM_RSRC2:TIDIG_COMP_CNT: 0
	.text
	.p2alignl 7, 3214868480
	.fill 96, 4, 3214868480
	.type	__hip_cuid_cd8ab17830c4b79a,@object ; @__hip_cuid_cd8ab17830c4b79a
	.section	.bss,"aw",@nobits
	.globl	__hip_cuid_cd8ab17830c4b79a
__hip_cuid_cd8ab17830c4b79a:
	.byte	0                               ; 0x0
	.size	__hip_cuid_cd8ab17830c4b79a, 1

	.ident	"AMD clang version 19.0.0git (https://github.com/RadeonOpenCompute/llvm-project roc-6.4.0 25133 c7fe45cf4b819c5991fe208aaa96edf142730f1d)"
	.section	".note.GNU-stack","",@progbits
	.addrsig
	.addrsig_sym __hip_cuid_cd8ab17830c4b79a
	.amdgpu_metadata
---
amdhsa.kernels:
  - .args:
      - .actual_access:  read_only
        .address_space:  global
        .offset:         0
        .size:           8
        .value_kind:     global_buffer
      - .offset:         8
        .size:           8
        .value_kind:     by_value
      - .actual_access:  read_only
        .address_space:  global
        .offset:         16
        .size:           8
        .value_kind:     global_buffer
      - .actual_access:  read_only
        .address_space:  global
        .offset:         24
        .size:           8
        .value_kind:     global_buffer
      - .offset:         32
        .size:           8
        .value_kind:     by_value
      - .actual_access:  read_only
        .address_space:  global
        .offset:         40
        .size:           8
        .value_kind:     global_buffer
      - .actual_access:  read_only
        .address_space:  global
        .offset:         48
        .size:           8
        .value_kind:     global_buffer
      - .offset:         56
        .size:           4
        .value_kind:     by_value
      - .actual_access:  read_only
        .address_space:  global
        .offset:         64
        .size:           8
        .value_kind:     global_buffer
      - .actual_access:  read_only
        .address_space:  global
        .offset:         72
        .size:           8
        .value_kind:     global_buffer
      - .address_space:  global
        .offset:         80
        .size:           8
        .value_kind:     global_buffer
    .group_segment_fixed_size: 0
    .kernarg_segment_align: 8
    .kernarg_segment_size: 88
    .language:       OpenCL C
    .language_version:
      - 2
      - 0
    .max_flat_workgroup_size: 117
    .name:           fft_rtc_fwd_len546_factors_13_3_7_2_wgs_117_tpt_39_halfLds_dp_ip_CI_unitstride_sbrr_R2C_dirReg
    .private_segment_fixed_size: 12
    .sgpr_count:     46
    .sgpr_spill_count: 0
    .symbol:         fft_rtc_fwd_len546_factors_13_3_7_2_wgs_117_tpt_39_halfLds_dp_ip_CI_unitstride_sbrr_R2C_dirReg.kd
    .uniform_work_group_size: 1
    .uses_dynamic_stack: false
    .vgpr_count:     256
    .vgpr_spill_count: 2
    .wavefront_size: 32
    .workgroup_processor_mode: 1
amdhsa.target:   amdgcn-amd-amdhsa--gfx1201
amdhsa.version:
  - 1
  - 2
...

	.end_amdgpu_metadata
